;; amdgpu-corpus repo=ROCm/rccl kind=compiled arch=gfx1030 opt=O3
	.amdgcn_target "amdgcn-amd-amdhsa--gfx1030"
	.amdhsa_code_object_version 6
	.text
	.p2align	2                               ; -- Begin function __ockl_fprintf_append_string_n
	.type	__ockl_fprintf_append_string_n,@function
__ockl_fprintf_append_string_n:         ; @__ockl_fprintf_append_string_n
; %bb.0:
	s_waitcnt vmcnt(0) expcnt(0) lgkmcnt(0)
	v_or_b32_e32 v2, 2, v0
	v_cmp_eq_u32_e32 vcc_lo, 0, v6
	v_mbcnt_lo_u32_b32 v35, -1, 0
	s_getpc_b64 s[4:5]
	s_add_u32 s4, s4, .str.3@rel32@lo+4
	s_addc_u32 s5, s5, .str.3@rel32@hi+12
	s_mov_b32 s14, 0
	s_cmp_lg_u64 s[4:5], 0
	v_cndmask_b32_e32 v34, v2, v0, vcc_lo
	s_cbranch_scc0 .LBB0_113
; %bb.1:
	s_load_dwordx2 s[6:7], s[8:9], 0x50
	v_and_b32_e32 v0, -3, v34
	s_getpc_b64 s[4:5]
	s_add_u32 s4, s4, .str.3@rel32@lo+4
	s_addc_u32 s5, s5, .str.3@rel32@hi+12
	v_mov_b32_e32 v11, v1
	v_mov_b32_e32 v2, s4
	v_and_b32_e32 v36, 2, v34
	v_mov_b32_e32 v7, 0
	v_mov_b32_e32 v3, s5
	;; [unrolled: 1-line block ×5, first 2 shown]
	s_mov_b32 s15, 0
	s_branch .LBB0_3
.LBB0_2:                                ;   in Loop: Header=BB0_3 Depth=1
	s_or_b32 exec_lo, exec_lo, s12
	v_sub_co_u32 v4, vcc_lo, v4, v30
	v_sub_co_ci_u32_e64 v5, null, v5, v31, vcc_lo
	v_add_co_u32 v2, s4, v2, v30
	v_add_co_ci_u32_e64 v3, null, v3, v31, s4
	v_cmp_eq_u64_e32 vcc_lo, 0, v[4:5]
	s_or_b32 s15, vcc_lo, s15
	s_andn2_b32 exec_lo, exec_lo, s15
	s_cbranch_execz .LBB0_85
.LBB0_3:                                ; =>This Loop Header: Depth=1
                                        ;     Child Loop BB0_6 Depth 2
                                        ;     Child Loop BB0_14 Depth 2
	;; [unrolled: 1-line block ×11, first 2 shown]
	v_cmp_gt_u64_e32 vcc_lo, 56, v[4:5]
	s_mov_b32 s5, exec_lo
	v_cndmask_b32_e32 v31, 0, v5, vcc_lo
	v_cndmask_b32_e32 v30, 56, v4, vcc_lo
	v_add_co_u32 v16, vcc_lo, v2, 8
	v_add_co_ci_u32_e64 v17, null, 0, v3, vcc_lo
	v_cmpx_gt_u64_e32 8, v[4:5]
	s_xor_b32 s5, exec_lo, s5
	s_cbranch_execz .LBB0_9
; %bb.4:                                ;   in Loop: Header=BB0_3 Depth=1
	s_waitcnt vmcnt(0)
	v_mov_b32_e32 v12, 0
	v_mov_b32_e32 v13, 0
	s_mov_b32 s12, exec_lo
	v_cmpx_ne_u64_e32 0, v[4:5]
	s_cbranch_execz .LBB0_8
; %bb.5:                                ;   in Loop: Header=BB0_3 Depth=1
	v_lshlrev_b64 v[14:15], 3, v[30:31]
	v_mov_b32_e32 v12, 0
	v_mov_b32_e32 v16, v3
	;; [unrolled: 1-line block ×4, first 2 shown]
	s_mov_b64 s[10:11], 0
	s_mov_b32 s13, 0
	.p2align	6
.LBB0_6:                                ;   Parent Loop BB0_3 Depth=1
                                        ; =>  This Inner Loop Header: Depth=2
	global_load_ubyte v0, v[15:16], off
	v_mov_b32_e32 v18, s14
	v_add_co_u32 v15, vcc_lo, v15, 1
	v_add_co_ci_u32_e64 v16, null, 0, v16, vcc_lo
	s_waitcnt vmcnt(0)
	v_and_b32_e32 v17, 0xffff, v0
	v_lshlrev_b64 v[17:18], s10, v[17:18]
	s_add_u32 s10, s10, 8
	s_addc_u32 s11, s11, 0
	v_cmp_eq_u32_e64 s4, s10, v14
	v_or_b32_e32 v13, v18, v13
	v_or_b32_e32 v12, v17, v12
	s_or_b32 s13, s4, s13
	s_andn2_b32 exec_lo, exec_lo, s13
	s_cbranch_execnz .LBB0_6
; %bb.7:                                ;   in Loop: Header=BB0_3 Depth=1
	s_or_b32 exec_lo, exec_lo, s13
.LBB0_8:                                ;   in Loop: Header=BB0_3 Depth=1
	s_or_b32 exec_lo, exec_lo, s12
	v_mov_b32_e32 v17, v3
	v_mov_b32_e32 v16, v2
.LBB0_9:                                ;   in Loop: Header=BB0_3 Depth=1
	s_or_saveexec_b32 s4, s5
	v_mov_b32_e32 v0, 0
	s_xor_b32 exec_lo, exec_lo, s4
	s_cbranch_execz .LBB0_11
; %bb.10:                               ;   in Loop: Header=BB0_3 Depth=1
	global_load_dwordx2 v[12:13], v[2:3], off
	v_add_nc_u32_e32 v0, -8, v30
.LBB0_11:                               ;   in Loop: Header=BB0_3 Depth=1
	s_or_b32 exec_lo, exec_lo, s4
	v_add_co_u32 v18, s4, v16, 8
	v_add_co_ci_u32_e64 v19, null, 0, v17, s4
                                        ; implicit-def: $vgpr14_vgpr15
	s_mov_b32 s4, exec_lo
	v_cmpx_gt_u32_e32 8, v0
	s_xor_b32 s12, exec_lo, s4
	s_cbranch_execz .LBB0_17
; %bb.12:                               ;   in Loop: Header=BB0_3 Depth=1
	v_mov_b32_e32 v14, 0
	v_mov_b32_e32 v15, 0
	s_mov_b32 s13, exec_lo
	v_cmpx_ne_u32_e32 0, v0
	s_cbranch_execz .LBB0_16
; %bb.13:                               ;   in Loop: Header=BB0_3 Depth=1
	v_mov_b32_e32 v14, 0
	v_mov_b32_e32 v15, 0
	s_mov_b64 s[4:5], 0
	s_mov_b32 s16, 0
	s_mov_b64 s[10:11], 0
	.p2align	6
.LBB0_14:                               ;   Parent Loop BB0_3 Depth=1
                                        ; =>  This Inner Loop Header: Depth=2
	v_add_co_u32 v18, vcc_lo, v16, s10
	v_add_co_ci_u32_e64 v19, null, s11, v17, vcc_lo
	s_add_u32 s10, s10, 1
	s_addc_u32 s11, s11, 0
	v_cmp_eq_u32_e32 vcc_lo, s10, v0
	global_load_ubyte v6, v[18:19], off
	v_mov_b32_e32 v19, s14
	s_waitcnt vmcnt(0)
	v_and_b32_e32 v18, 0xffff, v6
	v_lshlrev_b64 v[18:19], s4, v[18:19]
	s_add_u32 s4, s4, 8
	s_addc_u32 s5, s5, 0
	s_or_b32 s16, vcc_lo, s16
	v_or_b32_e32 v15, v19, v15
	v_or_b32_e32 v14, v18, v14
	s_andn2_b32 exec_lo, exec_lo, s16
	s_cbranch_execnz .LBB0_14
; %bb.15:                               ;   in Loop: Header=BB0_3 Depth=1
	s_or_b32 exec_lo, exec_lo, s16
.LBB0_16:                               ;   in Loop: Header=BB0_3 Depth=1
	s_or_b32 exec_lo, exec_lo, s13
	v_mov_b32_e32 v19, v17
	v_mov_b32_e32 v18, v16
                                        ; implicit-def: $vgpr0
.LBB0_17:                               ;   in Loop: Header=BB0_3 Depth=1
	s_or_saveexec_b32 s4, s12
	v_mov_b32_e32 v6, 0
	s_xor_b32 exec_lo, exec_lo, s4
	s_cbranch_execz .LBB0_19
; %bb.18:                               ;   in Loop: Header=BB0_3 Depth=1
	global_load_dwordx2 v[14:15], v[16:17], off
	v_add_nc_u32_e32 v6, -8, v0
.LBB0_19:                               ;   in Loop: Header=BB0_3 Depth=1
	s_or_b32 exec_lo, exec_lo, s4
	v_add_co_u32 v20, s4, v18, 8
	v_add_co_ci_u32_e64 v21, null, 0, v19, s4
	s_mov_b32 s4, exec_lo
	v_cmpx_gt_u32_e32 8, v6
	s_xor_b32 s12, exec_lo, s4
	s_cbranch_execz .LBB0_25
; %bb.20:                               ;   in Loop: Header=BB0_3 Depth=1
	v_mov_b32_e32 v16, 0
	v_mov_b32_e32 v17, 0
	s_mov_b32 s13, exec_lo
	v_cmpx_ne_u32_e32 0, v6
	s_cbranch_execz .LBB0_24
; %bb.21:                               ;   in Loop: Header=BB0_3 Depth=1
	v_mov_b32_e32 v16, 0
	v_mov_b32_e32 v17, 0
	s_mov_b64 s[4:5], 0
	s_mov_b32 s16, 0
	s_mov_b64 s[10:11], 0
	.p2align	6
.LBB0_22:                               ;   Parent Loop BB0_3 Depth=1
                                        ; =>  This Inner Loop Header: Depth=2
	v_add_co_u32 v20, vcc_lo, v18, s10
	v_add_co_ci_u32_e64 v21, null, s11, v19, vcc_lo
	s_add_u32 s10, s10, 1
	s_addc_u32 s11, s11, 0
	v_cmp_eq_u32_e32 vcc_lo, s10, v6
	global_load_ubyte v0, v[20:21], off
	v_mov_b32_e32 v21, s14
	s_waitcnt vmcnt(0)
	v_and_b32_e32 v20, 0xffff, v0
	v_lshlrev_b64 v[20:21], s4, v[20:21]
	s_add_u32 s4, s4, 8
	s_addc_u32 s5, s5, 0
	s_or_b32 s16, vcc_lo, s16
	v_or_b32_e32 v17, v21, v17
	v_or_b32_e32 v16, v20, v16
	s_andn2_b32 exec_lo, exec_lo, s16
	s_cbranch_execnz .LBB0_22
; %bb.23:                               ;   in Loop: Header=BB0_3 Depth=1
	s_or_b32 exec_lo, exec_lo, s16
.LBB0_24:                               ;   in Loop: Header=BB0_3 Depth=1
	s_or_b32 exec_lo, exec_lo, s13
	v_mov_b32_e32 v21, v19
	v_mov_b32_e32 v20, v18
                                        ; implicit-def: $vgpr6
.LBB0_25:                               ;   in Loop: Header=BB0_3 Depth=1
	s_or_saveexec_b32 s4, s12
	v_mov_b32_e32 v0, 0
	s_xor_b32 exec_lo, exec_lo, s4
	s_cbranch_execz .LBB0_27
; %bb.26:                               ;   in Loop: Header=BB0_3 Depth=1
	global_load_dwordx2 v[16:17], v[18:19], off
	v_add_nc_u32_e32 v0, -8, v6
.LBB0_27:                               ;   in Loop: Header=BB0_3 Depth=1
	s_or_b32 exec_lo, exec_lo, s4
	v_add_co_u32 v22, s4, v20, 8
	v_add_co_ci_u32_e64 v23, null, 0, v21, s4
                                        ; implicit-def: $vgpr18_vgpr19
	s_mov_b32 s4, exec_lo
	v_cmpx_gt_u32_e32 8, v0
	s_xor_b32 s12, exec_lo, s4
	s_cbranch_execz .LBB0_33
; %bb.28:                               ;   in Loop: Header=BB0_3 Depth=1
	v_mov_b32_e32 v18, 0
	v_mov_b32_e32 v19, 0
	s_mov_b32 s13, exec_lo
	v_cmpx_ne_u32_e32 0, v0
	s_cbranch_execz .LBB0_32
; %bb.29:                               ;   in Loop: Header=BB0_3 Depth=1
	v_mov_b32_e32 v18, 0
	v_mov_b32_e32 v19, 0
	s_mov_b64 s[4:5], 0
	s_mov_b32 s16, 0
	s_mov_b64 s[10:11], 0
	.p2align	6
.LBB0_30:                               ;   Parent Loop BB0_3 Depth=1
                                        ; =>  This Inner Loop Header: Depth=2
	v_add_co_u32 v22, vcc_lo, v20, s10
	v_add_co_ci_u32_e64 v23, null, s11, v21, vcc_lo
	s_add_u32 s10, s10, 1
	s_addc_u32 s11, s11, 0
	v_cmp_eq_u32_e32 vcc_lo, s10, v0
	global_load_ubyte v6, v[22:23], off
	v_mov_b32_e32 v23, s14
	s_waitcnt vmcnt(0)
	v_and_b32_e32 v22, 0xffff, v6
	v_lshlrev_b64 v[22:23], s4, v[22:23]
	s_add_u32 s4, s4, 8
	s_addc_u32 s5, s5, 0
	s_or_b32 s16, vcc_lo, s16
	v_or_b32_e32 v19, v23, v19
	v_or_b32_e32 v18, v22, v18
	s_andn2_b32 exec_lo, exec_lo, s16
	s_cbranch_execnz .LBB0_30
; %bb.31:                               ;   in Loop: Header=BB0_3 Depth=1
	s_or_b32 exec_lo, exec_lo, s16
.LBB0_32:                               ;   in Loop: Header=BB0_3 Depth=1
	s_or_b32 exec_lo, exec_lo, s13
	v_mov_b32_e32 v23, v21
	v_mov_b32_e32 v22, v20
                                        ; implicit-def: $vgpr0
.LBB0_33:                               ;   in Loop: Header=BB0_3 Depth=1
	s_or_saveexec_b32 s4, s12
	v_mov_b32_e32 v6, 0
	s_xor_b32 exec_lo, exec_lo, s4
	s_cbranch_execz .LBB0_35
; %bb.34:                               ;   in Loop: Header=BB0_3 Depth=1
	global_load_dwordx2 v[18:19], v[20:21], off
	v_add_nc_u32_e32 v6, -8, v0
.LBB0_35:                               ;   in Loop: Header=BB0_3 Depth=1
	s_or_b32 exec_lo, exec_lo, s4
	v_add_co_u32 v24, s4, v22, 8
	v_add_co_ci_u32_e64 v25, null, 0, v23, s4
	s_mov_b32 s4, exec_lo
	v_cmpx_gt_u32_e32 8, v6
	s_xor_b32 s12, exec_lo, s4
	s_cbranch_execz .LBB0_41
; %bb.36:                               ;   in Loop: Header=BB0_3 Depth=1
	v_mov_b32_e32 v20, 0
	v_mov_b32_e32 v21, 0
	s_mov_b32 s13, exec_lo
	v_cmpx_ne_u32_e32 0, v6
	s_cbranch_execz .LBB0_40
; %bb.37:                               ;   in Loop: Header=BB0_3 Depth=1
	v_mov_b32_e32 v20, 0
	v_mov_b32_e32 v21, 0
	s_mov_b64 s[4:5], 0
	s_mov_b32 s16, 0
	s_mov_b64 s[10:11], 0
	.p2align	6
.LBB0_38:                               ;   Parent Loop BB0_3 Depth=1
                                        ; =>  This Inner Loop Header: Depth=2
	v_add_co_u32 v24, vcc_lo, v22, s10
	v_add_co_ci_u32_e64 v25, null, s11, v23, vcc_lo
	s_add_u32 s10, s10, 1
	s_addc_u32 s11, s11, 0
	v_cmp_eq_u32_e32 vcc_lo, s10, v6
	global_load_ubyte v0, v[24:25], off
	v_mov_b32_e32 v25, s14
	s_waitcnt vmcnt(0)
	v_and_b32_e32 v24, 0xffff, v0
	v_lshlrev_b64 v[24:25], s4, v[24:25]
	s_add_u32 s4, s4, 8
	s_addc_u32 s5, s5, 0
	s_or_b32 s16, vcc_lo, s16
	v_or_b32_e32 v21, v25, v21
	v_or_b32_e32 v20, v24, v20
	s_andn2_b32 exec_lo, exec_lo, s16
	s_cbranch_execnz .LBB0_38
; %bb.39:                               ;   in Loop: Header=BB0_3 Depth=1
	s_or_b32 exec_lo, exec_lo, s16
.LBB0_40:                               ;   in Loop: Header=BB0_3 Depth=1
	s_or_b32 exec_lo, exec_lo, s13
	v_mov_b32_e32 v25, v23
	v_mov_b32_e32 v24, v22
                                        ; implicit-def: $vgpr6
.LBB0_41:                               ;   in Loop: Header=BB0_3 Depth=1
	s_or_saveexec_b32 s4, s12
	v_mov_b32_e32 v0, 0
	s_xor_b32 exec_lo, exec_lo, s4
	s_cbranch_execz .LBB0_43
; %bb.42:                               ;   in Loop: Header=BB0_3 Depth=1
	global_load_dwordx2 v[20:21], v[22:23], off
	v_add_nc_u32_e32 v0, -8, v6
.LBB0_43:                               ;   in Loop: Header=BB0_3 Depth=1
	s_or_b32 exec_lo, exec_lo, s4
	v_add_co_u32 v26, s4, v24, 8
	v_add_co_ci_u32_e64 v27, null, 0, v25, s4
                                        ; implicit-def: $vgpr22_vgpr23
	s_mov_b32 s4, exec_lo
	v_cmpx_gt_u32_e32 8, v0
	s_xor_b32 s12, exec_lo, s4
	s_cbranch_execz .LBB0_49
; %bb.44:                               ;   in Loop: Header=BB0_3 Depth=1
	v_mov_b32_e32 v22, 0
	v_mov_b32_e32 v23, 0
	s_mov_b32 s13, exec_lo
	v_cmpx_ne_u32_e32 0, v0
	s_cbranch_execz .LBB0_48
; %bb.45:                               ;   in Loop: Header=BB0_3 Depth=1
	v_mov_b32_e32 v22, 0
	v_mov_b32_e32 v23, 0
	s_mov_b64 s[4:5], 0
	s_mov_b32 s16, 0
	s_mov_b64 s[10:11], 0
	.p2align	6
.LBB0_46:                               ;   Parent Loop BB0_3 Depth=1
                                        ; =>  This Inner Loop Header: Depth=2
	v_add_co_u32 v26, vcc_lo, v24, s10
	v_add_co_ci_u32_e64 v27, null, s11, v25, vcc_lo
	s_add_u32 s10, s10, 1
	s_addc_u32 s11, s11, 0
	v_cmp_eq_u32_e32 vcc_lo, s10, v0
	global_load_ubyte v6, v[26:27], off
	v_mov_b32_e32 v27, s14
	s_waitcnt vmcnt(0)
	v_and_b32_e32 v26, 0xffff, v6
	v_lshlrev_b64 v[26:27], s4, v[26:27]
	s_add_u32 s4, s4, 8
	s_addc_u32 s5, s5, 0
	s_or_b32 s16, vcc_lo, s16
	v_or_b32_e32 v23, v27, v23
	v_or_b32_e32 v22, v26, v22
	s_andn2_b32 exec_lo, exec_lo, s16
	s_cbranch_execnz .LBB0_46
; %bb.47:                               ;   in Loop: Header=BB0_3 Depth=1
	s_or_b32 exec_lo, exec_lo, s16
.LBB0_48:                               ;   in Loop: Header=BB0_3 Depth=1
	s_or_b32 exec_lo, exec_lo, s13
	v_mov_b32_e32 v27, v25
	v_mov_b32_e32 v26, v24
                                        ; implicit-def: $vgpr0
.LBB0_49:                               ;   in Loop: Header=BB0_3 Depth=1
	s_or_saveexec_b32 s4, s12
	v_mov_b32_e32 v6, 0
	s_xor_b32 exec_lo, exec_lo, s4
	s_cbranch_execz .LBB0_51
; %bb.50:                               ;   in Loop: Header=BB0_3 Depth=1
	global_load_dwordx2 v[22:23], v[24:25], off
	v_add_nc_u32_e32 v6, -8, v0
.LBB0_51:                               ;   in Loop: Header=BB0_3 Depth=1
	s_or_b32 exec_lo, exec_lo, s4
	s_mov_b32 s4, exec_lo
	v_cmpx_gt_u32_e32 8, v6
	s_xor_b32 s10, exec_lo, s4
	s_cbranch_execz .LBB0_57
; %bb.52:                               ;   in Loop: Header=BB0_3 Depth=1
	v_mov_b32_e32 v24, 0
	v_mov_b32_e32 v25, 0
	s_mov_b32 s11, exec_lo
	v_cmpx_ne_u32_e32 0, v6
	s_cbranch_execz .LBB0_56
; %bb.53:                               ;   in Loop: Header=BB0_3 Depth=1
	v_mov_b32_e32 v24, 0
	v_mov_b32_e32 v25, 0
	s_mov_b64 s[4:5], 0
	s_mov_b32 s12, 0
	.p2align	6
.LBB0_54:                               ;   Parent Loop BB0_3 Depth=1
                                        ; =>  This Inner Loop Header: Depth=2
	global_load_ubyte v0, v[26:27], off
	v_mov_b32_e32 v29, s14
	v_add_nc_u32_e32 v6, -1, v6
	v_add_co_u32 v26, vcc_lo, v26, 1
	v_add_co_ci_u32_e64 v27, null, 0, v27, vcc_lo
	v_cmp_eq_u32_e32 vcc_lo, 0, v6
	s_waitcnt vmcnt(0)
	v_and_b32_e32 v28, 0xffff, v0
	v_lshlrev_b64 v[28:29], s4, v[28:29]
	s_add_u32 s4, s4, 8
	s_addc_u32 s5, s5, 0
	s_or_b32 s12, vcc_lo, s12
	v_or_b32_e32 v25, v29, v25
	v_or_b32_e32 v24, v28, v24
	s_andn2_b32 exec_lo, exec_lo, s12
	s_cbranch_execnz .LBB0_54
; %bb.55:                               ;   in Loop: Header=BB0_3 Depth=1
	s_or_b32 exec_lo, exec_lo, s12
.LBB0_56:                               ;   in Loop: Header=BB0_3 Depth=1
	s_or_b32 exec_lo, exec_lo, s11
                                        ; implicit-def: $vgpr26_vgpr27
.LBB0_57:                               ;   in Loop: Header=BB0_3 Depth=1
	s_andn2_saveexec_b32 s4, s10
	s_cbranch_execz .LBB0_59
; %bb.58:                               ;   in Loop: Header=BB0_3 Depth=1
	global_load_dwordx2 v[24:25], v[26:27], off
.LBB0_59:                               ;   in Loop: Header=BB0_3 Depth=1
	s_or_b32 exec_lo, exec_lo, s4
	v_readfirstlane_b32 s4, v35
	v_mov_b32_e32 v32, 0
	v_mov_b32_e32 v33, 0
	v_cmp_eq_u32_e64 s4, s4, v35
	s_and_saveexec_b32 s5, s4
	s_cbranch_execz .LBB0_65
; %bb.60:                               ;   in Loop: Header=BB0_3 Depth=1
	s_waitcnt lgkmcnt(0)
	global_load_dwordx2 v[28:29], v7, s[6:7] offset:24 glc dlc
	s_waitcnt vmcnt(0)
	buffer_gl1_inv
	buffer_gl0_inv
	s_clause 0x1
	global_load_dwordx2 v[26:27], v7, s[6:7] offset:40
	global_load_dwordx2 v[32:33], v7, s[6:7]
	s_mov_b32 s10, exec_lo
	s_waitcnt vmcnt(1)
	v_and_b32_e32 v0, v27, v29
	v_and_b32_e32 v6, v26, v28
	v_mul_lo_u32 v0, v0, 24
	v_mul_hi_u32 v26, v6, 24
	v_mul_lo_u32 v6, v6, 24
	v_add_nc_u32_e32 v0, v26, v0
	s_waitcnt vmcnt(0)
	v_add_co_u32 v26, vcc_lo, v32, v6
	v_add_co_ci_u32_e64 v27, null, v33, v0, vcc_lo
	global_load_dwordx2 v[26:27], v[26:27], off glc dlc
	s_waitcnt vmcnt(0)
	global_atomic_cmpswap_x2 v[32:33], v7, v[26:29], s[6:7] offset:24 glc
	s_waitcnt vmcnt(0)
	buffer_gl1_inv
	buffer_gl0_inv
	v_cmpx_ne_u64_e64 v[32:33], v[28:29]
	s_cbranch_execz .LBB0_64
; %bb.61:                               ;   in Loop: Header=BB0_3 Depth=1
	s_mov_b32 s11, 0
	.p2align	6
.LBB0_62:                               ;   Parent Loop BB0_3 Depth=1
                                        ; =>  This Inner Loop Header: Depth=2
	s_sleep 1
	s_clause 0x1
	global_load_dwordx2 v[26:27], v7, s[6:7] offset:40
	global_load_dwordx2 v[37:38], v7, s[6:7]
	v_mov_b32_e32 v28, v32
	v_mov_b32_e32 v29, v33
	s_waitcnt vmcnt(1)
	v_and_b32_e32 v0, v26, v28
	v_and_b32_e32 v6, v27, v29
	s_waitcnt vmcnt(0)
	v_mad_u64_u32 v[32:33], null, v0, 24, v[37:38]
	v_mov_b32_e32 v0, v33
	v_mad_u64_u32 v[26:27], null, v6, 24, v[0:1]
	v_mov_b32_e32 v33, v26
	global_load_dwordx2 v[26:27], v[32:33], off glc dlc
	s_waitcnt vmcnt(0)
	global_atomic_cmpswap_x2 v[32:33], v7, v[26:29], s[6:7] offset:24 glc
	s_waitcnt vmcnt(0)
	buffer_gl1_inv
	buffer_gl0_inv
	v_cmp_eq_u64_e32 vcc_lo, v[32:33], v[28:29]
	s_or_b32 s11, vcc_lo, s11
	s_andn2_b32 exec_lo, exec_lo, s11
	s_cbranch_execnz .LBB0_62
; %bb.63:                               ;   in Loop: Header=BB0_3 Depth=1
	s_or_b32 exec_lo, exec_lo, s11
.LBB0_64:                               ;   in Loop: Header=BB0_3 Depth=1
	s_or_b32 exec_lo, exec_lo, s10
.LBB0_65:                               ;   in Loop: Header=BB0_3 Depth=1
	s_or_b32 exec_lo, exec_lo, s5
	s_waitcnt lgkmcnt(0)
	s_clause 0x1
	global_load_dwordx2 v[37:38], v7, s[6:7] offset:40
	global_load_dwordx4 v[26:29], v7, s[6:7]
	v_readfirstlane_b32 s11, v33
	v_readfirstlane_b32 s10, v32
	s_mov_b32 s5, exec_lo
	s_waitcnt vmcnt(1)
	v_readfirstlane_b32 s12, v37
	v_readfirstlane_b32 s13, v38
	s_and_b64 s[12:13], s[12:13], s[10:11]
	s_mul_i32 s16, s13, 24
	s_mul_hi_u32 s17, s12, 24
	s_mul_i32 s18, s12, 24
	s_add_i32 s17, s17, s16
	s_waitcnt vmcnt(0)
	v_add_co_u32 v32, vcc_lo, v26, s18
	v_add_co_ci_u32_e64 v33, null, s17, v27, vcc_lo
	s_and_saveexec_b32 s16, s4
	s_cbranch_execz .LBB0_67
; %bb.66:                               ;   in Loop: Header=BB0_3 Depth=1
	v_mov_b32_e32 v6, s5
	global_store_dwordx4 v[32:33], v[6:9], off offset:8
.LBB0_67:                               ;   in Loop: Header=BB0_3 Depth=1
	s_or_b32 exec_lo, exec_lo, s16
	v_cmp_gt_u64_e32 vcc_lo, 57, v[4:5]
	s_lshl_b64 s[12:13], s[12:13], 12
	v_and_b32_e32 v10, 0xffffff1f, v10
	v_lshl_add_u32 v37, v30, 2, 28
	v_cndmask_b32_e32 v6, 0, v36, vcc_lo
	v_add_co_u32 v0, vcc_lo, v28, s12
	v_add_co_ci_u32_e64 v28, null, s13, v29, vcc_lo
	v_or_b32_e32 v6, v10, v6
	v_lshlrev_b32_e32 v29, 6, v35
	v_readfirstlane_b32 s12, v0
	v_readfirstlane_b32 s13, v28
	v_and_or_b32 v10, 0x1e0, v37, v6
	global_store_dwordx4 v29, v[14:17], s[12:13] offset:16
	global_store_dwordx4 v29, v[10:13], s[12:13]
	global_store_dwordx4 v29, v[18:21], s[12:13] offset:32
	global_store_dwordx4 v29, v[22:25], s[12:13] offset:48
	s_and_saveexec_b32 s5, s4
	s_cbranch_execz .LBB0_75
; %bb.68:                               ;   in Loop: Header=BB0_3 Depth=1
	s_clause 0x1
	global_load_dwordx2 v[18:19], v7, s[6:7] offset:32 glc dlc
	global_load_dwordx2 v[10:11], v7, s[6:7] offset:40
	v_mov_b32_e32 v16, s10
	v_mov_b32_e32 v17, s11
	s_waitcnt vmcnt(0)
	v_readfirstlane_b32 s12, v10
	v_readfirstlane_b32 s13, v11
	s_and_b64 s[12:13], s[12:13], s[10:11]
	s_mul_i32 s13, s13, 24
	s_mul_hi_u32 s16, s12, 24
	s_mul_i32 s12, s12, 24
	s_add_i32 s16, s16, s13
	v_add_co_u32 v14, vcc_lo, v26, s12
	v_add_co_ci_u32_e64 v15, null, s16, v27, vcc_lo
	s_mov_b32 s12, exec_lo
	global_store_dwordx2 v[14:15], v[18:19], off
	s_waitcnt_vscnt null, 0x0
	global_atomic_cmpswap_x2 v[12:13], v7, v[16:19], s[6:7] offset:32 glc
	s_waitcnt vmcnt(0)
	v_cmpx_ne_u64_e64 v[12:13], v[18:19]
	s_cbranch_execz .LBB0_71
; %bb.69:                               ;   in Loop: Header=BB0_3 Depth=1
	s_mov_b32 s13, 0
.LBB0_70:                               ;   Parent Loop BB0_3 Depth=1
                                        ; =>  This Inner Loop Header: Depth=2
	v_mov_b32_e32 v10, s10
	v_mov_b32_e32 v11, s11
	s_sleep 1
	global_store_dwordx2 v[14:15], v[12:13], off
	s_waitcnt_vscnt null, 0x0
	global_atomic_cmpswap_x2 v[10:11], v7, v[10:13], s[6:7] offset:32 glc
	s_waitcnt vmcnt(0)
	v_cmp_eq_u64_e32 vcc_lo, v[10:11], v[12:13]
	v_mov_b32_e32 v13, v11
	v_mov_b32_e32 v12, v10
	s_or_b32 s13, vcc_lo, s13
	s_andn2_b32 exec_lo, exec_lo, s13
	s_cbranch_execnz .LBB0_70
.LBB0_71:                               ;   in Loop: Header=BB0_3 Depth=1
	s_or_b32 exec_lo, exec_lo, s12
	global_load_dwordx2 v[10:11], v7, s[6:7] offset:16
	s_mov_b32 s13, exec_lo
	s_mov_b32 s12, exec_lo
	v_mbcnt_lo_u32_b32 v6, s13, 0
	v_cmpx_eq_u32_e32 0, v6
	s_cbranch_execz .LBB0_73
; %bb.72:                               ;   in Loop: Header=BB0_3 Depth=1
	s_bcnt1_i32_b32 s13, s13
	v_mov_b32_e32 v6, s13
	s_waitcnt vmcnt(0)
	global_atomic_add_x2 v[10:11], v[6:7], off offset:8
.LBB0_73:                               ;   in Loop: Header=BB0_3 Depth=1
	s_or_b32 exec_lo, exec_lo, s12
	s_waitcnt vmcnt(0)
	global_load_dwordx2 v[12:13], v[10:11], off offset:16
	s_waitcnt vmcnt(0)
	v_cmp_eq_u64_e32 vcc_lo, 0, v[12:13]
	s_cbranch_vccnz .LBB0_75
; %bb.74:                               ;   in Loop: Header=BB0_3 Depth=1
	global_load_dword v6, v[10:11], off offset:24
	s_waitcnt vmcnt(0)
	v_readfirstlane_b32 s12, v6
	s_waitcnt_vscnt null, 0x0
	global_store_dwordx2 v[12:13], v[6:7], off
	s_and_b32 m0, s12, 0x7fffff
	s_sendmsg sendmsg(MSG_INTERRUPT)
.LBB0_75:                               ;   in Loop: Header=BB0_3 Depth=1
	s_or_b32 exec_lo, exec_lo, s5
	v_add_co_u32 v10, vcc_lo, v0, v29
	v_add_co_ci_u32_e64 v11, null, 0, v28, vcc_lo
	s_branch .LBB0_79
	.p2align	6
.LBB0_76:                               ;   in Loop: Header=BB0_79 Depth=2
	s_or_b32 exec_lo, exec_lo, s5
	v_readfirstlane_b32 s5, v0
	s_cmp_eq_u32 s5, 0
	s_cbranch_scc1 .LBB0_78
; %bb.77:                               ;   in Loop: Header=BB0_79 Depth=2
	s_sleep 1
	s_cbranch_execnz .LBB0_79
	s_branch .LBB0_81
	.p2align	6
.LBB0_78:                               ;   in Loop: Header=BB0_3 Depth=1
	s_branch .LBB0_81
.LBB0_79:                               ;   Parent Loop BB0_3 Depth=1
                                        ; =>  This Inner Loop Header: Depth=2
	v_mov_b32_e32 v0, 1
	s_and_saveexec_b32 s5, s4
	s_cbranch_execz .LBB0_76
; %bb.80:                               ;   in Loop: Header=BB0_79 Depth=2
	global_load_dword v0, v[32:33], off offset:20 glc dlc
	s_waitcnt vmcnt(0)
	buffer_gl1_inv
	buffer_gl0_inv
	v_and_b32_e32 v0, 1, v0
	s_branch .LBB0_76
.LBB0_81:                               ;   in Loop: Header=BB0_3 Depth=1
	global_load_dwordx4 v[10:13], v[10:11], off
	s_and_saveexec_b32 s12, s4
	s_cbranch_execz .LBB0_2
; %bb.82:                               ;   in Loop: Header=BB0_3 Depth=1
	s_clause 0x2
	global_load_dwordx2 v[12:13], v7, s[6:7] offset:40
	global_load_dwordx2 v[20:21], v7, s[6:7] offset:24 glc dlc
	global_load_dwordx2 v[14:15], v7, s[6:7]
	s_waitcnt vmcnt(2)
	v_readfirstlane_b32 s16, v12
	v_readfirstlane_b32 s17, v13
	s_add_u32 s13, s16, 1
	s_addc_u32 s18, s17, 0
	s_add_u32 s4, s13, s10
	s_addc_u32 s5, s18, s11
	s_cmp_eq_u64 s[4:5], 0
	s_cselect_b32 s5, s18, s5
	s_cselect_b32 s4, s13, s4
	v_mov_b32_e32 v19, s5
	s_and_b64 s[10:11], s[4:5], s[16:17]
	v_mov_b32_e32 v18, s4
	s_mul_i32 s11, s11, 24
	s_mul_hi_u32 s13, s10, 24
	s_mul_i32 s10, s10, 24
	s_add_i32 s13, s13, s11
	s_waitcnt vmcnt(0)
	v_add_co_u32 v16, vcc_lo, v14, s10
	v_add_co_ci_u32_e64 v17, null, s13, v15, vcc_lo
	global_store_dwordx2 v[16:17], v[20:21], off
	s_waitcnt_vscnt null, 0x0
	global_atomic_cmpswap_x2 v[14:15], v7, v[18:21], s[6:7] offset:24 glc
	s_waitcnt vmcnt(0)
	v_cmp_ne_u64_e32 vcc_lo, v[14:15], v[20:21]
	s_and_b32 exec_lo, exec_lo, vcc_lo
	s_cbranch_execz .LBB0_2
; %bb.83:                               ;   in Loop: Header=BB0_3 Depth=1
	s_mov_b32 s10, 0
.LBB0_84:                               ;   Parent Loop BB0_3 Depth=1
                                        ; =>  This Inner Loop Header: Depth=2
	v_mov_b32_e32 v12, s4
	v_mov_b32_e32 v13, s5
	s_sleep 1
	global_store_dwordx2 v[16:17], v[14:15], off
	s_waitcnt_vscnt null, 0x0
	global_atomic_cmpswap_x2 v[12:13], v7, v[12:15], s[6:7] offset:24 glc
	s_waitcnt vmcnt(0)
	v_cmp_eq_u64_e32 vcc_lo, v[12:13], v[14:15]
	v_mov_b32_e32 v15, v13
	v_mov_b32_e32 v14, v12
	s_or_b32 s10, vcc_lo, s10
	s_andn2_b32 exec_lo, exec_lo, s10
	s_cbranch_execnz .LBB0_84
	s_branch .LBB0_2
.LBB0_85:
	s_or_b32 exec_lo, exec_lo, s15
	s_branch .LBB0_114
.LBB0_86:
	s_load_dwordx2 s[6:7], s[8:9], 0x50
	v_readfirstlane_b32 s4, v35
	v_mov_b32_e32 v8, 0
	v_mov_b32_e32 v9, 0
	v_cmp_eq_u32_e64 s4, s4, v35
	s_and_saveexec_b32 s5, s4
	s_cbranch_execz .LBB0_92
; %bb.87:
	v_mov_b32_e32 v0, 0
	s_mov_b32 s8, exec_lo
	s_waitcnt lgkmcnt(0)
	global_load_dwordx2 v[4:5], v0, s[6:7] offset:24 glc dlc
	s_waitcnt vmcnt(0)
	buffer_gl1_inv
	buffer_gl0_inv
	s_clause 0x1
	global_load_dwordx2 v[2:3], v0, s[6:7] offset:40
	global_load_dwordx2 v[6:7], v0, s[6:7]
	s_waitcnt vmcnt(1)
	v_and_b32_e32 v3, v3, v5
	v_and_b32_e32 v2, v2, v4
	v_mul_lo_u32 v3, v3, 24
	v_mul_hi_u32 v8, v2, 24
	v_mul_lo_u32 v2, v2, 24
	v_add_nc_u32_e32 v3, v8, v3
	s_waitcnt vmcnt(0)
	v_add_co_u32 v2, vcc_lo, v6, v2
	v_add_co_ci_u32_e64 v3, null, v7, v3, vcc_lo
	global_load_dwordx2 v[2:3], v[2:3], off glc dlc
	s_waitcnt vmcnt(0)
	global_atomic_cmpswap_x2 v[8:9], v0, v[2:5], s[6:7] offset:24 glc
	s_waitcnt vmcnt(0)
	buffer_gl1_inv
	buffer_gl0_inv
	v_cmpx_ne_u64_e64 v[8:9], v[4:5]
	s_cbranch_execz .LBB0_91
; %bb.88:
	s_mov_b32 s9, 0
	.p2align	6
.LBB0_89:                               ; =>This Inner Loop Header: Depth=1
	s_sleep 1
	s_clause 0x1
	global_load_dwordx2 v[2:3], v0, s[6:7] offset:40
	global_load_dwordx2 v[6:7], v0, s[6:7]
	v_mov_b32_e32 v4, v8
	v_mov_b32_e32 v5, v9
	s_waitcnt vmcnt(1)
	v_and_b32_e32 v2, v2, v4
	v_and_b32_e32 v3, v3, v5
	s_waitcnt vmcnt(0)
	v_mad_u64_u32 v[6:7], null, v2, 24, v[6:7]
	v_mov_b32_e32 v2, v7
	v_mad_u64_u32 v[2:3], null, v3, 24, v[2:3]
	v_mov_b32_e32 v7, v2
	global_load_dwordx2 v[2:3], v[6:7], off glc dlc
	s_waitcnt vmcnt(0)
	global_atomic_cmpswap_x2 v[8:9], v0, v[2:5], s[6:7] offset:24 glc
	s_waitcnt vmcnt(0)
	buffer_gl1_inv
	buffer_gl0_inv
	v_cmp_eq_u64_e32 vcc_lo, v[8:9], v[4:5]
	s_or_b32 s9, vcc_lo, s9
	s_andn2_b32 exec_lo, exec_lo, s9
	s_cbranch_execnz .LBB0_89
; %bb.90:
	s_or_b32 exec_lo, exec_lo, s9
.LBB0_91:
	s_or_b32 exec_lo, exec_lo, s8
.LBB0_92:
	s_or_b32 exec_lo, exec_lo, s5
	v_mov_b32_e32 v2, 0
	v_readfirstlane_b32 s9, v9
	v_readfirstlane_b32 s8, v8
	s_mov_b32 s5, exec_lo
	s_waitcnt lgkmcnt(0)
	s_clause 0x1
	global_load_dwordx2 v[10:11], v2, s[6:7] offset:40
	global_load_dwordx4 v[4:7], v2, s[6:7]
	s_waitcnt vmcnt(1)
	v_readfirstlane_b32 s10, v10
	v_readfirstlane_b32 s11, v11
	s_and_b64 s[10:11], s[10:11], s[8:9]
	s_mul_i32 s12, s11, 24
	s_mul_hi_u32 s13, s10, 24
	s_mul_i32 s14, s10, 24
	s_add_i32 s13, s13, s12
	s_waitcnt vmcnt(0)
	v_add_co_u32 v8, vcc_lo, v4, s14
	v_add_co_ci_u32_e64 v9, null, s13, v5, vcc_lo
	s_and_saveexec_b32 s12, s4
	s_cbranch_execz .LBB0_94
; %bb.93:
	v_mov_b32_e32 v10, s5
	v_mov_b32_e32 v11, v2
	v_mov_b32_e32 v12, 2
	v_mov_b32_e32 v13, 1
	global_store_dwordx4 v[8:9], v[10:13], off offset:8
.LBB0_94:
	s_or_b32 exec_lo, exec_lo, s12
	s_lshl_b64 s[10:11], s[10:11], 12
	s_mov_b32 s12, 0
	v_add_co_u32 v6, vcc_lo, v6, s10
	v_add_co_ci_u32_e64 v7, null, s11, v7, vcc_lo
	s_mov_b32 s13, s12
	s_mov_b32 s14, s12
	;; [unrolled: 1-line block ×3, first 2 shown]
	v_and_or_b32 v0, 0xffffff1f, v34, 32
	v_lshlrev_b32_e32 v14, 6, v35
	v_mov_b32_e32 v3, v2
	v_readfirstlane_b32 s10, v6
	v_readfirstlane_b32 s11, v7
	v_mov_b32_e32 v10, s12
	v_mov_b32_e32 v11, s13
	;; [unrolled: 1-line block ×4, first 2 shown]
	global_store_dwordx4 v14, v[0:3], s[10:11]
	global_store_dwordx4 v14, v[10:13], s[10:11] offset:16
	global_store_dwordx4 v14, v[10:13], s[10:11] offset:32
	;; [unrolled: 1-line block ×3, first 2 shown]
	s_and_saveexec_b32 s5, s4
	s_cbranch_execz .LBB0_102
; %bb.95:
	v_mov_b32_e32 v6, 0
	v_mov_b32_e32 v10, s8
	;; [unrolled: 1-line block ×3, first 2 shown]
	s_mov_b32 s10, exec_lo
	s_clause 0x1
	global_load_dwordx2 v[12:13], v6, s[6:7] offset:32 glc dlc
	global_load_dwordx2 v[0:1], v6, s[6:7] offset:40
	s_waitcnt vmcnt(0)
	v_and_b32_e32 v1, s9, v1
	v_and_b32_e32 v0, s8, v0
	v_mul_lo_u32 v1, v1, 24
	v_mul_hi_u32 v2, v0, 24
	v_mul_lo_u32 v0, v0, 24
	v_add_nc_u32_e32 v1, v2, v1
	v_add_co_u32 v4, vcc_lo, v4, v0
	v_add_co_ci_u32_e64 v5, null, v5, v1, vcc_lo
	global_store_dwordx2 v[4:5], v[12:13], off
	s_waitcnt_vscnt null, 0x0
	global_atomic_cmpswap_x2 v[2:3], v6, v[10:13], s[6:7] offset:32 glc
	s_waitcnt vmcnt(0)
	v_cmpx_ne_u64_e64 v[2:3], v[12:13]
	s_cbranch_execz .LBB0_98
; %bb.96:
	s_mov_b32 s11, 0
.LBB0_97:                               ; =>This Inner Loop Header: Depth=1
	v_mov_b32_e32 v0, s8
	v_mov_b32_e32 v1, s9
	s_sleep 1
	global_store_dwordx2 v[4:5], v[2:3], off
	s_waitcnt_vscnt null, 0x0
	global_atomic_cmpswap_x2 v[0:1], v6, v[0:3], s[6:7] offset:32 glc
	s_waitcnt vmcnt(0)
	v_cmp_eq_u64_e32 vcc_lo, v[0:1], v[2:3]
	v_mov_b32_e32 v3, v1
	v_mov_b32_e32 v2, v0
	s_or_b32 s11, vcc_lo, s11
	s_andn2_b32 exec_lo, exec_lo, s11
	s_cbranch_execnz .LBB0_97
.LBB0_98:
	s_or_b32 exec_lo, exec_lo, s10
	v_mov_b32_e32 v3, 0
	s_mov_b32 s11, exec_lo
	s_mov_b32 s10, exec_lo
	v_mbcnt_lo_u32_b32 v2, s11, 0
	global_load_dwordx2 v[0:1], v3, s[6:7] offset:16
	v_cmpx_eq_u32_e32 0, v2
	s_cbranch_execz .LBB0_100
; %bb.99:
	s_bcnt1_i32_b32 s11, s11
	v_mov_b32_e32 v2, s11
	s_waitcnt vmcnt(0)
	global_atomic_add_x2 v[0:1], v[2:3], off offset:8
.LBB0_100:
	s_or_b32 exec_lo, exec_lo, s10
	s_waitcnt vmcnt(0)
	global_load_dwordx2 v[2:3], v[0:1], off offset:16
	s_waitcnt vmcnt(0)
	v_cmp_eq_u64_e32 vcc_lo, 0, v[2:3]
	s_cbranch_vccnz .LBB0_102
; %bb.101:
	global_load_dword v0, v[0:1], off offset:24
	v_mov_b32_e32 v1, 0
	s_waitcnt vmcnt(0)
	v_readfirstlane_b32 s10, v0
	s_waitcnt_vscnt null, 0x0
	global_store_dwordx2 v[2:3], v[0:1], off
	s_and_b32 m0, s10, 0x7fffff
	s_sendmsg sendmsg(MSG_INTERRUPT)
.LBB0_102:
	s_or_b32 exec_lo, exec_lo, s5
	s_branch .LBB0_106
	.p2align	6
.LBB0_103:                              ;   in Loop: Header=BB0_106 Depth=1
	s_or_b32 exec_lo, exec_lo, s5
	v_readfirstlane_b32 s5, v0
	s_cmp_eq_u32 s5, 0
	s_cbranch_scc1 .LBB0_105
; %bb.104:                              ;   in Loop: Header=BB0_106 Depth=1
	s_sleep 1
	s_cbranch_execnz .LBB0_106
	s_branch .LBB0_108
	.p2align	6
.LBB0_105:
	s_branch .LBB0_108
.LBB0_106:                              ; =>This Inner Loop Header: Depth=1
	v_mov_b32_e32 v0, 1
	s_and_saveexec_b32 s5, s4
	s_cbranch_execz .LBB0_103
; %bb.107:                              ;   in Loop: Header=BB0_106 Depth=1
	global_load_dword v0, v[8:9], off offset:20 glc dlc
	s_waitcnt vmcnt(0)
	buffer_gl1_inv
	buffer_gl0_inv
	v_and_b32_e32 v0, 1, v0
	s_branch .LBB0_103
.LBB0_108:
	s_and_saveexec_b32 s10, s4
	s_cbranch_execz .LBB0_112
; %bb.109:
	v_mov_b32_e32 v6, 0
	s_clause 0x2
	global_load_dwordx2 v[0:1], v6, s[6:7] offset:40
	global_load_dwordx2 v[9:10], v6, s[6:7] offset:24 glc dlc
	global_load_dwordx2 v[2:3], v6, s[6:7]
	s_waitcnt vmcnt(2)
	v_readfirstlane_b32 s12, v0
	v_readfirstlane_b32 s13, v1
	s_add_u32 s11, s12, 1
	s_addc_u32 s14, s13, 0
	s_add_u32 s4, s11, s8
	s_addc_u32 s5, s14, s9
	s_cmp_eq_u64 s[4:5], 0
	s_cselect_b32 s5, s14, s5
	s_cselect_b32 s4, s11, s4
	v_mov_b32_e32 v8, s5
	s_and_b64 s[8:9], s[4:5], s[12:13]
	v_mov_b32_e32 v7, s4
	s_mul_i32 s9, s9, 24
	s_mul_hi_u32 s11, s8, 24
	s_mul_i32 s8, s8, 24
	s_add_i32 s11, s11, s9
	s_waitcnt vmcnt(0)
	v_add_co_u32 v4, vcc_lo, v2, s8
	v_add_co_ci_u32_e64 v5, null, s11, v3, vcc_lo
	global_store_dwordx2 v[4:5], v[9:10], off
	s_waitcnt_vscnt null, 0x0
	global_atomic_cmpswap_x2 v[2:3], v6, v[7:10], s[6:7] offset:24 glc
	s_waitcnt vmcnt(0)
	v_cmp_ne_u64_e32 vcc_lo, v[2:3], v[9:10]
	s_and_b32 exec_lo, exec_lo, vcc_lo
	s_cbranch_execz .LBB0_112
; %bb.110:
	s_mov_b32 s8, 0
.LBB0_111:                              ; =>This Inner Loop Header: Depth=1
	v_mov_b32_e32 v0, s4
	v_mov_b32_e32 v1, s5
	s_sleep 1
	global_store_dwordx2 v[4:5], v[2:3], off
	s_waitcnt_vscnt null, 0x0
	global_atomic_cmpswap_x2 v[0:1], v6, v[0:3], s[6:7] offset:24 glc
	s_waitcnt vmcnt(0)
	v_cmp_eq_u64_e32 vcc_lo, v[0:1], v[2:3]
	v_mov_b32_e32 v3, v1
	v_mov_b32_e32 v2, v0
	s_or_b32 s8, vcc_lo, s8
	s_andn2_b32 exec_lo, exec_lo, s8
	s_cbranch_execnz .LBB0_111
.LBB0_112:
	s_or_b32 exec_lo, exec_lo, s10
	s_waitcnt lgkmcnt(0)
	s_setpc_b64 s[30:31]
.LBB0_113:
	s_cbranch_execnz .LBB0_86
.LBB0_114:
	s_waitcnt vmcnt(0) lgkmcnt(0)
	s_setpc_b64 s[30:31]
.Lfunc_end0:
	.size	__ockl_fprintf_append_string_n, .Lfunc_end0-__ockl_fprintf_append_string_n
                                        ; -- End function
	.set .L__ockl_fprintf_append_string_n.num_vgpr, 39
	.set .L__ockl_fprintf_append_string_n.num_agpr, 0
	.set .L__ockl_fprintf_append_string_n.numbered_sgpr, 32
	.set .L__ockl_fprintf_append_string_n.num_named_barrier, 0
	.set .L__ockl_fprintf_append_string_n.private_seg_size, 0
	.set .L__ockl_fprintf_append_string_n.uses_vcc, 1
	.set .L__ockl_fprintf_append_string_n.uses_flat_scratch, 0
	.set .L__ockl_fprintf_append_string_n.has_dyn_sized_stack, 0
	.set .L__ockl_fprintf_append_string_n.has_recursion, 0
	.set .L__ockl_fprintf_append_string_n.has_indirect_call, 0
	.section	.AMDGPU.csdata,"",@progbits
; Function info:
; codeLenInByte = 4528
; TotalNumSgprs: 34
; NumVgprs: 39
; ScratchSize: 0
; MemoryBound: 0
	.text
	.p2align	2                               ; -- Begin function __assert_fail
	.type	__assert_fail,@function
__assert_fail:                          ; @__assert_fail
; %bb.0:
	s_waitcnt vmcnt(0) expcnt(0) lgkmcnt(0)
	s_mov_b32 s24, s33
	s_mov_b32 s33, s32
	s_xor_saveexec_b32 s4, -1
	buffer_store_dword v39, off, s[0:3], s33 offset:48 ; 4-byte Folded Spill
	s_mov_b32 exec_lo, s4
	v_writelane_b32 v39, s30, 0
	s_addk_i32 s32, 0x800
	v_writelane_b32 v39, s31, 1
	v_mov_b32_e32 v4, v0
	v_mov_b32_e32 v0, 0
	s_getpc_b64 s[4:5]
	s_add_u32 s4, s4, __const.__assert_fail.fmt@rel32@lo+35
	s_addc_u32 s5, s5, __const.__assert_fail.fmt@rel32@hi+43
	v_mbcnt_lo_u32_b32 v32, -1, 0
	v_mov_b32_e32 v6, 0
	v_mov_b32_e32 v5, v1
	global_load_dwordx4 v[8:11], v0, s[4:5]
	s_getpc_b64 s[4:5]
	s_add_u32 s4, s4, __const.__assert_fail.fmt@rel32@lo+4
	s_addc_u32 s5, s5, __const.__assert_fail.fmt@rel32@hi+12
	s_getpc_b64 s[6:7]
	s_add_u32 s6, s6, __const.__assert_fail.fmt@rel32@lo+20
	s_addc_u32 s7, s7, __const.__assert_fail.fmt@rel32@hi+28
	s_clause 0x1
	s_load_dwordx4 s[12:15], s[4:5], 0x0
	s_load_dwordx4 s[16:19], s[6:7], 0x0
	s_load_dwordx2 s[6:7], s[8:9], 0x50
	v_readfirstlane_b32 s4, v32
	v_mov_b32_e32 v7, 0
	v_cmp_eq_u32_e64 s4, s4, v32
	s_waitcnt lgkmcnt(0)
	v_mov_b32_e32 v1, s15
	v_mov_b32_e32 v2, s14
	;; [unrolled: 1-line block ×8, first 2 shown]
	buffer_store_dword v1, off, s[0:3], s33 offset:12
	buffer_store_dword v2, off, s[0:3], s33 offset:8
	;; [unrolled: 1-line block ×3, first 2 shown]
	buffer_store_dword v12, off, s[0:3], s33
	buffer_store_dword v13, off, s[0:3], s33 offset:28
	buffer_store_dword v14, off, s[0:3], s33 offset:24
	;; [unrolled: 1-line block ×4, first 2 shown]
	s_waitcnt vmcnt(0)
	buffer_store_dword v11, off, s[0:3], s33 offset:43
	buffer_store_dword v10, off, s[0:3], s33 offset:39
	;; [unrolled: 1-line block ×4, first 2 shown]
	s_and_saveexec_b32 s5, s4
	s_cbranch_execz .LBB1_6
; %bb.1:
	global_load_dwordx2 v[8:9], v0, s[6:7] offset:24 glc dlc
	s_waitcnt vmcnt(0)
	buffer_gl1_inv
	buffer_gl0_inv
	s_clause 0x1
	global_load_dwordx2 v[1:2], v0, s[6:7] offset:40
	global_load_dwordx2 v[6:7], v0, s[6:7]
	s_mov_b32 s10, exec_lo
	s_waitcnt vmcnt(1)
	v_and_b32_e32 v2, v2, v9
	v_and_b32_e32 v1, v1, v8
	v_mul_lo_u32 v2, v2, 24
	v_mul_hi_u32 v3, v1, 24
	v_mul_lo_u32 v1, v1, 24
	v_add_nc_u32_e32 v2, v3, v2
	s_waitcnt vmcnt(0)
	v_add_co_u32 v1, vcc_lo, v6, v1
	v_add_co_ci_u32_e64 v2, null, v7, v2, vcc_lo
	global_load_dwordx2 v[6:7], v[1:2], off glc dlc
	s_waitcnt vmcnt(0)
	global_atomic_cmpswap_x2 v[6:7], v0, v[6:9], s[6:7] offset:24 glc
	s_waitcnt vmcnt(0)
	buffer_gl1_inv
	buffer_gl0_inv
	v_cmpx_ne_u64_e64 v[6:7], v[8:9]
	s_cbranch_execz .LBB1_5
; %bb.2:
	v_mov_b32_e32 v1, 0
	s_mov_b32 s11, 0
	.p2align	6
.LBB1_3:                                ; =>This Inner Loop Header: Depth=1
	s_sleep 1
	s_clause 0x1
	global_load_dwordx2 v[2:3], v1, s[6:7] offset:40
	global_load_dwordx2 v[10:11], v1, s[6:7]
	v_mov_b32_e32 v9, v7
	v_mov_b32_e32 v8, v6
	s_waitcnt vmcnt(1)
	v_and_b32_e32 v2, v2, v8
	v_and_b32_e32 v3, v3, v9
	s_waitcnt vmcnt(0)
	v_mad_u64_u32 v[6:7], null, v2, 24, v[10:11]
	v_mov_b32_e32 v2, v7
	v_mad_u64_u32 v[2:3], null, v3, 24, v[2:3]
	v_mov_b32_e32 v7, v2
	global_load_dwordx2 v[6:7], v[6:7], off glc dlc
	s_waitcnt vmcnt(0)
	global_atomic_cmpswap_x2 v[6:7], v1, v[6:9], s[6:7] offset:24 glc
	s_waitcnt vmcnt(0)
	buffer_gl1_inv
	buffer_gl0_inv
	v_cmp_eq_u64_e32 vcc_lo, v[6:7], v[8:9]
	s_or_b32 s11, vcc_lo, s11
	s_andn2_b32 exec_lo, exec_lo, s11
	s_cbranch_execnz .LBB1_3
; %bb.4:
	s_or_b32 exec_lo, exec_lo, s11
.LBB1_5:
	s_or_b32 exec_lo, exec_lo, s10
.LBB1_6:
	s_or_b32 exec_lo, exec_lo, s5
	s_clause 0x1
	global_load_dwordx2 v[8:9], v0, s[6:7] offset:40
	global_load_dwordx4 v[0:3], v0, s[6:7]
	v_readfirstlane_b32 s11, v7
	v_readfirstlane_b32 s10, v6
	s_mov_b32 s5, exec_lo
	s_waitcnt vmcnt(1)
	v_readfirstlane_b32 s12, v8
	v_readfirstlane_b32 s13, v9
	s_and_b64 s[12:13], s[12:13], s[10:11]
	s_mul_i32 s14, s13, 24
	s_mul_hi_u32 s15, s12, 24
	s_mul_i32 s16, s12, 24
	s_add_i32 s15, s15, s14
	s_waitcnt vmcnt(0)
	v_add_co_u32 v10, vcc_lo, v0, s16
	v_add_co_ci_u32_e64 v11, null, s15, v1, vcc_lo
	s_and_saveexec_b32 s14, s4
	s_cbranch_execz .LBB1_8
; %bb.7:
	v_mov_b32_e32 v6, s5
	v_mov_b32_e32 v7, 0
	;; [unrolled: 1-line block ×4, first 2 shown]
	global_store_dwordx4 v[10:11], v[6:9], off offset:8
.LBB1_8:
	s_or_b32 exec_lo, exec_lo, s14
	s_lshl_b64 s[12:13], s[12:13], 12
	v_lshlrev_b32_e32 v33, 6, v32
	v_add_co_u32 v2, vcc_lo, v2, s12
	v_add_co_ci_u32_e64 v3, null, s13, v3, vcc_lo
	v_mov_b32_e32 v7, 0
	s_mov_b32 s12, 0
	v_add_co_u32 v12, vcc_lo, v2, v33
	s_mov_b32 s15, s12
	s_mov_b32 s13, s12
	;; [unrolled: 1-line block ×3, first 2 shown]
	v_mov_b32_e32 v6, 33
	v_mov_b32_e32 v8, 1
	;; [unrolled: 1-line block ×3, first 2 shown]
	v_readfirstlane_b32 s16, v2
	v_readfirstlane_b32 s17, v3
	v_mov_b32_e32 v17, s15
	v_add_co_ci_u32_e64 v13, null, 0, v3, vcc_lo
	v_mov_b32_e32 v16, s14
	v_mov_b32_e32 v15, s13
	;; [unrolled: 1-line block ×3, first 2 shown]
	global_store_dwordx4 v33, v[6:9], s[16:17]
	global_store_dwordx4 v33, v[14:17], s[16:17] offset:16
	global_store_dwordx4 v33, v[14:17], s[16:17] offset:32
	;; [unrolled: 1-line block ×3, first 2 shown]
	s_and_saveexec_b32 s5, s4
	s_cbranch_execz .LBB1_16
; %bb.9:
	s_clause 0x1
	global_load_dwordx2 v[16:17], v7, s[6:7] offset:32 glc dlc
	global_load_dwordx2 v[2:3], v7, s[6:7] offset:40
	v_mov_b32_e32 v14, s10
	v_mov_b32_e32 v15, s11
	s_mov_b32 s12, exec_lo
	s_waitcnt vmcnt(0)
	v_and_b32_e32 v3, s11, v3
	v_and_b32_e32 v2, s10, v2
	v_mul_lo_u32 v3, v3, 24
	v_mul_hi_u32 v6, v2, 24
	v_mul_lo_u32 v2, v2, 24
	v_add_nc_u32_e32 v3, v6, v3
	v_add_co_u32 v8, vcc_lo, v0, v2
	v_add_co_ci_u32_e64 v9, null, v1, v3, vcc_lo
	global_store_dwordx2 v[8:9], v[16:17], off
	s_waitcnt_vscnt null, 0x0
	global_atomic_cmpswap_x2 v[2:3], v7, v[14:17], s[6:7] offset:32 glc
	s_waitcnt vmcnt(0)
	v_cmpx_ne_u64_e64 v[2:3], v[16:17]
	s_cbranch_execz .LBB1_12
; %bb.10:
	v_mov_b32_e32 v6, 0
	s_mov_b32 s13, 0
.LBB1_11:                               ; =>This Inner Loop Header: Depth=1
	v_mov_b32_e32 v0, s10
	v_mov_b32_e32 v1, s11
	s_sleep 1
	global_store_dwordx2 v[8:9], v[2:3], off
	s_waitcnt_vscnt null, 0x0
	global_atomic_cmpswap_x2 v[0:1], v6, v[0:3], s[6:7] offset:32 glc
	s_waitcnt vmcnt(0)
	v_cmp_eq_u64_e32 vcc_lo, v[0:1], v[2:3]
	v_mov_b32_e32 v3, v1
	v_mov_b32_e32 v2, v0
	s_or_b32 s13, vcc_lo, s13
	s_andn2_b32 exec_lo, exec_lo, s13
	s_cbranch_execnz .LBB1_11
.LBB1_12:
	s_or_b32 exec_lo, exec_lo, s12
	v_mov_b32_e32 v3, 0
	s_mov_b32 s13, exec_lo
	s_mov_b32 s12, exec_lo
	v_mbcnt_lo_u32_b32 v2, s13, 0
	global_load_dwordx2 v[0:1], v3, s[6:7] offset:16
	v_cmpx_eq_u32_e32 0, v2
	s_cbranch_execz .LBB1_14
; %bb.13:
	s_bcnt1_i32_b32 s13, s13
	v_mov_b32_e32 v2, s13
	s_waitcnt vmcnt(0)
	global_atomic_add_x2 v[0:1], v[2:3], off offset:8
.LBB1_14:
	s_or_b32 exec_lo, exec_lo, s12
	s_waitcnt vmcnt(0)
	global_load_dwordx2 v[2:3], v[0:1], off offset:16
	s_waitcnt vmcnt(0)
	v_cmp_eq_u64_e32 vcc_lo, 0, v[2:3]
	s_cbranch_vccnz .LBB1_16
; %bb.15:
	global_load_dword v0, v[0:1], off offset:24
	v_mov_b32_e32 v1, 0
	s_waitcnt vmcnt(0)
	v_readfirstlane_b32 s12, v0
	s_waitcnt_vscnt null, 0x0
	global_store_dwordx2 v[2:3], v[0:1], off
	s_and_b32 m0, s12, 0x7fffff
	s_sendmsg sendmsg(MSG_INTERRUPT)
.LBB1_16:
	s_or_b32 exec_lo, exec_lo, s5
	s_branch .LBB1_20
	.p2align	6
.LBB1_17:                               ;   in Loop: Header=BB1_20 Depth=1
	s_or_b32 exec_lo, exec_lo, s5
	v_readfirstlane_b32 s5, v0
	s_cmp_eq_u32 s5, 0
	s_cbranch_scc1 .LBB1_19
; %bb.18:                               ;   in Loop: Header=BB1_20 Depth=1
	s_sleep 1
	s_cbranch_execnz .LBB1_20
	s_branch .LBB1_22
	.p2align	6
.LBB1_19:
	s_branch .LBB1_22
.LBB1_20:                               ; =>This Inner Loop Header: Depth=1
	v_mov_b32_e32 v0, 1
	s_and_saveexec_b32 s5, s4
	s_cbranch_execz .LBB1_17
; %bb.21:                               ;   in Loop: Header=BB1_20 Depth=1
	global_load_dword v0, v[10:11], off offset:20 glc dlc
	s_waitcnt vmcnt(0)
	buffer_gl1_inv
	buffer_gl0_inv
	v_and_b32_e32 v0, 1, v0
	s_branch .LBB1_17
.LBB1_22:
	global_load_dwordx2 v[6:7], v[12:13], off
	s_and_saveexec_b32 s12, s4
	s_cbranch_execz .LBB1_26
; %bb.23:
	v_mov_b32_e32 v10, 0
	s_clause 0x2
	global_load_dwordx2 v[0:1], v10, s[6:7] offset:40
	global_load_dwordx2 v[13:14], v10, s[6:7] offset:24 glc dlc
	global_load_dwordx2 v[2:3], v10, s[6:7]
	s_waitcnt vmcnt(2)
	v_readfirstlane_b32 s14, v0
	v_readfirstlane_b32 s15, v1
	s_add_u32 s13, s14, 1
	s_addc_u32 s16, s15, 0
	s_add_u32 s4, s13, s10
	s_addc_u32 s5, s16, s11
	s_cmp_eq_u64 s[4:5], 0
	s_cselect_b32 s5, s16, s5
	s_cselect_b32 s4, s13, s4
	v_mov_b32_e32 v12, s5
	s_and_b64 s[10:11], s[4:5], s[14:15]
	v_mov_b32_e32 v11, s4
	s_mul_i32 s11, s11, 24
	s_mul_hi_u32 s13, s10, 24
	s_mul_i32 s10, s10, 24
	s_add_i32 s13, s13, s11
	s_waitcnt vmcnt(0)
	v_add_co_u32 v8, vcc_lo, v2, s10
	v_add_co_ci_u32_e64 v9, null, s13, v3, vcc_lo
	global_store_dwordx2 v[8:9], v[13:14], off
	s_waitcnt_vscnt null, 0x0
	global_atomic_cmpswap_x2 v[2:3], v10, v[11:14], s[6:7] offset:24 glc
	s_waitcnt vmcnt(0)
	v_cmp_ne_u64_e32 vcc_lo, v[2:3], v[13:14]
	s_and_b32 exec_lo, exec_lo, vcc_lo
	s_cbranch_execz .LBB1_26
; %bb.24:
	s_mov_b32 s10, 0
.LBB1_25:                               ; =>This Inner Loop Header: Depth=1
	v_mov_b32_e32 v0, s4
	v_mov_b32_e32 v1, s5
	s_sleep 1
	global_store_dwordx2 v[8:9], v[2:3], off
	s_waitcnt_vscnt null, 0x0
	global_atomic_cmpswap_x2 v[0:1], v10, v[0:3], s[6:7] offset:24 glc
	s_waitcnt vmcnt(0)
	v_cmp_eq_u64_e32 vcc_lo, v[0:1], v[2:3]
	v_mov_b32_e32 v3, v1
	v_mov_b32_e32 v2, v0
	s_or_b32 s10, vcc_lo, s10
	s_andn2_b32 exec_lo, exec_lo, s10
	s_cbranch_execnz .LBB1_25
.LBB1_26:
	s_or_b32 exec_lo, exec_lo, s12
	s_lshr_b32 s5, s33, 5
	s_mov_b32 s4, 0
.LBB1_27:                               ; =>This Inner Loop Header: Depth=1
	v_mov_b32_e32 v0, s5
	s_add_i32 s5, s5, 1
	buffer_load_ubyte v0, v0, s[0:3], 0 offen
	s_waitcnt vmcnt(0)
	v_cmp_eq_u16_e32 vcc_lo, 0, v0
	v_mov_b32_e32 v0, s5
	s_or_b32 s4, vcc_lo, s4
	s_andn2_b32 exec_lo, exec_lo, s4
	s_cbranch_execnz .LBB1_27
; %bb.28:
	s_or_b32 exec_lo, exec_lo, s4
	s_lshr_b32 s4, s33, 5
	s_cmp_lg_u32 s4, -1
	s_cbranch_scc0 .LBB1_113
; %bb.29:
	v_lshrrev_b32_e64 v1, 5, s33
	v_and_b32_e32 v34, 2, v6
	v_mov_b32_e32 v9, 0
	v_lshrrev_b32_e64 v35, 5, s33
	v_mov_b32_e32 v10, 2
	v_subrev_nc_u32_e32 v28, v1, v0
	v_and_b32_e32 v0, -3, v6
	v_mov_b32_e32 v1, v7
	v_mov_b32_e32 v11, 1
	s_mov_b32 s15, 0
	v_ashrrev_i32_e32 v29, 31, v28
	s_mov_b32 s14, 0
	s_branch .LBB1_31
.LBB1_30:                               ;   in Loop: Header=BB1_31 Depth=1
	s_or_b32 exec_lo, exec_lo, s12
	v_sub_co_u32 v28, vcc_lo, v28, v36
	v_sub_co_ci_u32_e64 v29, null, v29, v26, vcc_lo
	v_add_nc_u32_e32 v35, v35, v36
	v_cmp_eq_u64_e32 vcc_lo, 0, v[28:29]
	s_or_b32 s14, vcc_lo, s14
	s_andn2_b32 exec_lo, exec_lo, s14
	s_cbranch_execz .LBB1_114
.LBB1_31:                               ; =>This Loop Header: Depth=1
                                        ;     Child Loop BB1_34 Depth 2
                                        ;     Child Loop BB1_42 Depth 2
	;; [unrolled: 1-line block ×11, first 2 shown]
	v_cmp_gt_u64_e32 vcc_lo, 56, v[28:29]
	v_add_nc_u32_e32 v14, 8, v35
	s_mov_b32 s5, exec_lo
	v_cndmask_b32_e32 v36, 56, v28, vcc_lo
	v_cmpx_gt_u64_e32 8, v[28:29]
	s_xor_b32 s5, exec_lo, s5
	s_cbranch_execz .LBB1_37
; %bb.32:                               ;   in Loop: Header=BB1_31 Depth=1
	v_mov_b32_e32 v2, 0
	v_mov_b32_e32 v3, 0
	s_mov_b32 s12, exec_lo
	v_cmpx_ne_u64_e32 0, v[28:29]
	s_cbranch_execz .LBB1_36
; %bb.33:                               ;   in Loop: Header=BB1_31 Depth=1
	v_mov_b32_e32 v2, 0
	v_mov_b32_e32 v3, 0
	s_mov_b64 s[10:11], 0
	s_mov_b32 s13, 0
	s_mov_b32 s16, 0
	.p2align	6
.LBB1_34:                               ;   Parent Loop BB1_31 Depth=1
                                        ; =>  This Inner Loop Header: Depth=2
	v_add_nc_u32_e32 v8, s16, v35
	v_mov_b32_e32 v13, s15
	s_add_i32 s16, s16, 1
	v_cmp_eq_u32_e64 s4, s16, v36
	buffer_load_ubyte v8, v8, s[0:3], 0 offen
	s_waitcnt vmcnt(0)
	v_and_b32_e32 v12, 0xffff, v8
	v_lshlrev_b64 v[12:13], s10, v[12:13]
	s_add_u32 s10, s10, 8
	s_addc_u32 s11, s11, 0
	s_or_b32 s13, s4, s13
	v_or_b32_e32 v3, v13, v3
	v_or_b32_e32 v2, v12, v2
	s_andn2_b32 exec_lo, exec_lo, s13
	s_cbranch_execnz .LBB1_34
; %bb.35:                               ;   in Loop: Header=BB1_31 Depth=1
	s_or_b32 exec_lo, exec_lo, s13
.LBB1_36:                               ;   in Loop: Header=BB1_31 Depth=1
	s_or_b32 exec_lo, exec_lo, s12
	v_mov_b32_e32 v14, v35
.LBB1_37:                               ;   in Loop: Header=BB1_31 Depth=1
	s_or_saveexec_b32 s4, s5
	v_mov_b32_e32 v15, 0
	s_xor_b32 exec_lo, exec_lo, s4
	s_cbranch_execz .LBB1_39
; %bb.38:                               ;   in Loop: Header=BB1_31 Depth=1
	s_clause 0x1
	buffer_load_dword v2, v35, s[0:3], 0 offen
	buffer_load_dword v3, v35, s[0:3], 0 offen offset:4
	v_add_nc_u32_e32 v15, -8, v36
.LBB1_39:                               ;   in Loop: Header=BB1_31 Depth=1
	s_or_b32 exec_lo, exec_lo, s4
	v_add_nc_u32_e32 v8, 8, v14
	s_mov_b32 s5, exec_lo
                                        ; implicit-def: $vgpr12_vgpr13
	v_cmpx_gt_u32_e32 8, v15
	s_xor_b32 s5, exec_lo, s5
	s_cbranch_execz .LBB1_45
; %bb.40:                               ;   in Loop: Header=BB1_31 Depth=1
	v_mov_b32_e32 v12, 0
	v_mov_b32_e32 v13, 0
	s_mov_b32 s12, exec_lo
	v_cmpx_ne_u32_e32 0, v15
	s_cbranch_execz .LBB1_44
; %bb.41:                               ;   in Loop: Header=BB1_31 Depth=1
	v_mov_b32_e32 v12, 0
	v_mov_b32_e32 v13, 0
	s_mov_b64 s[10:11], 0
	s_mov_b32 s13, 0
	s_mov_b32 s16, 0
	.p2align	6
.LBB1_42:                               ;   Parent Loop BB1_31 Depth=1
                                        ; =>  This Inner Loop Header: Depth=2
	v_add_nc_u32_e32 v8, s16, v14
	v_mov_b32_e32 v17, s15
	s_add_i32 s16, s16, 1
	v_cmp_eq_u32_e64 s4, s16, v15
	buffer_load_ubyte v8, v8, s[0:3], 0 offen
	s_waitcnt vmcnt(0)
	v_and_b32_e32 v16, 0xffff, v8
	v_lshlrev_b64 v[16:17], s10, v[16:17]
	s_add_u32 s10, s10, 8
	s_addc_u32 s11, s11, 0
	s_or_b32 s13, s4, s13
	v_or_b32_e32 v13, v17, v13
	v_or_b32_e32 v12, v16, v12
	s_andn2_b32 exec_lo, exec_lo, s13
	s_cbranch_execnz .LBB1_42
; %bb.43:                               ;   in Loop: Header=BB1_31 Depth=1
	s_or_b32 exec_lo, exec_lo, s13
.LBB1_44:                               ;   in Loop: Header=BB1_31 Depth=1
	s_or_b32 exec_lo, exec_lo, s12
	v_mov_b32_e32 v8, v14
                                        ; implicit-def: $vgpr15
.LBB1_45:                               ;   in Loop: Header=BB1_31 Depth=1
	s_or_saveexec_b32 s4, s5
	v_mov_b32_e32 v16, 0
	s_xor_b32 exec_lo, exec_lo, s4
	s_cbranch_execz .LBB1_47
; %bb.46:                               ;   in Loop: Header=BB1_31 Depth=1
	s_clause 0x1
	buffer_load_dword v12, v14, s[0:3], 0 offen
	buffer_load_dword v13, v14, s[0:3], 0 offen offset:4
	v_add_nc_u32_e32 v16, -8, v15
.LBB1_47:                               ;   in Loop: Header=BB1_31 Depth=1
	s_or_b32 exec_lo, exec_lo, s4
	v_add_nc_u32_e32 v18, 8, v8
	s_mov_b32 s5, exec_lo
	v_cmpx_gt_u32_e32 8, v16
	s_xor_b32 s5, exec_lo, s5
	s_cbranch_execz .LBB1_53
; %bb.48:                               ;   in Loop: Header=BB1_31 Depth=1
	v_mov_b32_e32 v14, 0
	v_mov_b32_e32 v15, 0
	s_mov_b32 s12, exec_lo
	v_cmpx_ne_u32_e32 0, v16
	s_cbranch_execz .LBB1_52
; %bb.49:                               ;   in Loop: Header=BB1_31 Depth=1
	v_mov_b32_e32 v14, 0
	v_mov_b32_e32 v15, 0
	s_mov_b64 s[10:11], 0
	s_mov_b32 s13, 0
	s_mov_b32 s16, 0
	.p2align	6
.LBB1_50:                               ;   Parent Loop BB1_31 Depth=1
                                        ; =>  This Inner Loop Header: Depth=2
	v_add_nc_u32_e32 v17, s16, v8
	v_mov_b32_e32 v18, s15
	s_add_i32 s16, s16, 1
	v_cmp_eq_u32_e64 s4, s16, v16
	buffer_load_ubyte v17, v17, s[0:3], 0 offen
	s_waitcnt vmcnt(0)
	v_and_b32_e32 v17, 0xffff, v17
	v_lshlrev_b64 v[17:18], s10, v[17:18]
	s_add_u32 s10, s10, 8
	s_addc_u32 s11, s11, 0
	s_or_b32 s13, s4, s13
	v_or_b32_e32 v15, v18, v15
	v_or_b32_e32 v14, v17, v14
	s_andn2_b32 exec_lo, exec_lo, s13
	s_cbranch_execnz .LBB1_50
; %bb.51:                               ;   in Loop: Header=BB1_31 Depth=1
	s_or_b32 exec_lo, exec_lo, s13
.LBB1_52:                               ;   in Loop: Header=BB1_31 Depth=1
	s_or_b32 exec_lo, exec_lo, s12
	v_mov_b32_e32 v18, v8
                                        ; implicit-def: $vgpr16
.LBB1_53:                               ;   in Loop: Header=BB1_31 Depth=1
	s_or_saveexec_b32 s4, s5
	v_mov_b32_e32 v19, 0
	s_xor_b32 exec_lo, exec_lo, s4
	s_cbranch_execz .LBB1_55
; %bb.54:                               ;   in Loop: Header=BB1_31 Depth=1
	s_clause 0x1
	buffer_load_dword v14, v8, s[0:3], 0 offen
	buffer_load_dword v15, v8, s[0:3], 0 offen offset:4
	v_add_nc_u32_e32 v19, -8, v16
.LBB1_55:                               ;   in Loop: Header=BB1_31 Depth=1
	s_or_b32 exec_lo, exec_lo, s4
	v_add_nc_u32_e32 v8, 8, v18
	s_mov_b32 s5, exec_lo
                                        ; implicit-def: $vgpr16_vgpr17
	v_cmpx_gt_u32_e32 8, v19
	s_xor_b32 s5, exec_lo, s5
	s_cbranch_execz .LBB1_61
; %bb.56:                               ;   in Loop: Header=BB1_31 Depth=1
	v_mov_b32_e32 v16, 0
	v_mov_b32_e32 v17, 0
	s_mov_b32 s12, exec_lo
	v_cmpx_ne_u32_e32 0, v19
	s_cbranch_execz .LBB1_60
; %bb.57:                               ;   in Loop: Header=BB1_31 Depth=1
	v_mov_b32_e32 v16, 0
	v_mov_b32_e32 v17, 0
	s_mov_b64 s[10:11], 0
	s_mov_b32 s13, 0
	s_mov_b32 s16, 0
	.p2align	6
.LBB1_58:                               ;   Parent Loop BB1_31 Depth=1
                                        ; =>  This Inner Loop Header: Depth=2
	v_add_nc_u32_e32 v8, s16, v18
	v_mov_b32_e32 v21, s15
	s_add_i32 s16, s16, 1
	v_cmp_eq_u32_e64 s4, s16, v19
	buffer_load_ubyte v8, v8, s[0:3], 0 offen
	s_waitcnt vmcnt(0)
	v_and_b32_e32 v20, 0xffff, v8
	v_lshlrev_b64 v[20:21], s10, v[20:21]
	s_add_u32 s10, s10, 8
	s_addc_u32 s11, s11, 0
	s_or_b32 s13, s4, s13
	v_or_b32_e32 v17, v21, v17
	v_or_b32_e32 v16, v20, v16
	s_andn2_b32 exec_lo, exec_lo, s13
	s_cbranch_execnz .LBB1_58
; %bb.59:                               ;   in Loop: Header=BB1_31 Depth=1
	s_or_b32 exec_lo, exec_lo, s13
.LBB1_60:                               ;   in Loop: Header=BB1_31 Depth=1
	s_or_b32 exec_lo, exec_lo, s12
	v_mov_b32_e32 v8, v18
                                        ; implicit-def: $vgpr19
.LBB1_61:                               ;   in Loop: Header=BB1_31 Depth=1
	s_or_saveexec_b32 s4, s5
	v_mov_b32_e32 v20, 0
	s_xor_b32 exec_lo, exec_lo, s4
	s_cbranch_execz .LBB1_63
; %bb.62:                               ;   in Loop: Header=BB1_31 Depth=1
	s_clause 0x1
	buffer_load_dword v16, v18, s[0:3], 0 offen
	buffer_load_dword v17, v18, s[0:3], 0 offen offset:4
	v_add_nc_u32_e32 v20, -8, v19
.LBB1_63:                               ;   in Loop: Header=BB1_31 Depth=1
	s_or_b32 exec_lo, exec_lo, s4
	v_add_nc_u32_e32 v22, 8, v8
	s_mov_b32 s5, exec_lo
	v_cmpx_gt_u32_e32 8, v20
	s_xor_b32 s5, exec_lo, s5
	s_cbranch_execz .LBB1_69
; %bb.64:                               ;   in Loop: Header=BB1_31 Depth=1
	v_mov_b32_e32 v18, 0
	v_mov_b32_e32 v19, 0
	s_mov_b32 s12, exec_lo
	v_cmpx_ne_u32_e32 0, v20
	s_cbranch_execz .LBB1_68
; %bb.65:                               ;   in Loop: Header=BB1_31 Depth=1
	v_mov_b32_e32 v18, 0
	v_mov_b32_e32 v19, 0
	s_mov_b64 s[10:11], 0
	s_mov_b32 s13, 0
	s_mov_b32 s16, 0
	.p2align	6
.LBB1_66:                               ;   Parent Loop BB1_31 Depth=1
                                        ; =>  This Inner Loop Header: Depth=2
	v_add_nc_u32_e32 v21, s16, v8
	v_mov_b32_e32 v22, s15
	s_add_i32 s16, s16, 1
	v_cmp_eq_u32_e64 s4, s16, v20
	buffer_load_ubyte v21, v21, s[0:3], 0 offen
	s_waitcnt vmcnt(0)
	v_and_b32_e32 v21, 0xffff, v21
	v_lshlrev_b64 v[21:22], s10, v[21:22]
	s_add_u32 s10, s10, 8
	s_addc_u32 s11, s11, 0
	s_or_b32 s13, s4, s13
	v_or_b32_e32 v19, v22, v19
	v_or_b32_e32 v18, v21, v18
	s_andn2_b32 exec_lo, exec_lo, s13
	s_cbranch_execnz .LBB1_66
; %bb.67:                               ;   in Loop: Header=BB1_31 Depth=1
	s_or_b32 exec_lo, exec_lo, s13
.LBB1_68:                               ;   in Loop: Header=BB1_31 Depth=1
	s_or_b32 exec_lo, exec_lo, s12
	v_mov_b32_e32 v22, v8
                                        ; implicit-def: $vgpr20
.LBB1_69:                               ;   in Loop: Header=BB1_31 Depth=1
	s_or_saveexec_b32 s4, s5
	v_mov_b32_e32 v23, 0
	s_xor_b32 exec_lo, exec_lo, s4
	s_cbranch_execz .LBB1_71
; %bb.70:                               ;   in Loop: Header=BB1_31 Depth=1
	s_clause 0x1
	buffer_load_dword v18, v8, s[0:3], 0 offen
	buffer_load_dword v19, v8, s[0:3], 0 offen offset:4
	v_add_nc_u32_e32 v23, -8, v20
.LBB1_71:                               ;   in Loop: Header=BB1_31 Depth=1
	s_or_b32 exec_lo, exec_lo, s4
	v_add_nc_u32_e32 v8, 8, v22
	s_mov_b32 s5, exec_lo
                                        ; implicit-def: $vgpr20_vgpr21
	v_cmpx_gt_u32_e32 8, v23
	s_xor_b32 s5, exec_lo, s5
	s_cbranch_execz .LBB1_77
; %bb.72:                               ;   in Loop: Header=BB1_31 Depth=1
	v_mov_b32_e32 v20, 0
	v_mov_b32_e32 v21, 0
	s_mov_b32 s12, exec_lo
	v_cmpx_ne_u32_e32 0, v23
	s_cbranch_execz .LBB1_76
; %bb.73:                               ;   in Loop: Header=BB1_31 Depth=1
	v_mov_b32_e32 v20, 0
	v_mov_b32_e32 v21, 0
	s_mov_b64 s[10:11], 0
	s_mov_b32 s13, 0
	s_mov_b32 s16, 0
	.p2align	6
.LBB1_74:                               ;   Parent Loop BB1_31 Depth=1
                                        ; =>  This Inner Loop Header: Depth=2
	v_add_nc_u32_e32 v8, s16, v22
	v_mov_b32_e32 v25, s15
	s_add_i32 s16, s16, 1
	v_cmp_eq_u32_e64 s4, s16, v23
	buffer_load_ubyte v8, v8, s[0:3], 0 offen
	s_waitcnt vmcnt(0)
	v_and_b32_e32 v24, 0xffff, v8
	v_lshlrev_b64 v[24:25], s10, v[24:25]
	s_add_u32 s10, s10, 8
	s_addc_u32 s11, s11, 0
	s_or_b32 s13, s4, s13
	v_or_b32_e32 v21, v25, v21
	v_or_b32_e32 v20, v24, v20
	s_andn2_b32 exec_lo, exec_lo, s13
	s_cbranch_execnz .LBB1_74
; %bb.75:                               ;   in Loop: Header=BB1_31 Depth=1
	s_or_b32 exec_lo, exec_lo, s13
.LBB1_76:                               ;   in Loop: Header=BB1_31 Depth=1
	s_or_b32 exec_lo, exec_lo, s12
	v_mov_b32_e32 v8, v22
                                        ; implicit-def: $vgpr23
.LBB1_77:                               ;   in Loop: Header=BB1_31 Depth=1
	s_or_saveexec_b32 s4, s5
	v_mov_b32_e32 v24, 0
	s_xor_b32 exec_lo, exec_lo, s4
	s_cbranch_execz .LBB1_79
; %bb.78:                               ;   in Loop: Header=BB1_31 Depth=1
	s_clause 0x1
	buffer_load_dword v20, v22, s[0:3], 0 offen
	buffer_load_dword v21, v22, s[0:3], 0 offen offset:4
	v_add_nc_u32_e32 v24, -8, v23
.LBB1_79:                               ;   in Loop: Header=BB1_31 Depth=1
	s_or_b32 exec_lo, exec_lo, s4
	s_mov_b32 s5, exec_lo
	v_cmpx_gt_u32_e32 8, v24
	s_xor_b32 s5, exec_lo, s5
	s_cbranch_execz .LBB1_85
; %bb.80:                               ;   in Loop: Header=BB1_31 Depth=1
	v_mov_b32_e32 v22, 0
	v_mov_b32_e32 v23, 0
	s_mov_b32 s12, exec_lo
	v_cmpx_ne_u32_e32 0, v24
	s_cbranch_execz .LBB1_84
; %bb.81:                               ;   in Loop: Header=BB1_31 Depth=1
	v_mov_b32_e32 v22, 0
	v_mov_b32_e32 v23, 0
	s_mov_b64 s[10:11], 0
	s_mov_b32 s13, 0
	.p2align	6
.LBB1_82:                               ;   Parent Loop BB1_31 Depth=1
                                        ; =>  This Inner Loop Header: Depth=2
	buffer_load_ubyte v25, v8, s[0:3], 0 offen
	v_mov_b32_e32 v26, s15
	v_add_nc_u32_e32 v24, -1, v24
	v_add_nc_u32_e32 v8, 1, v8
	v_cmp_eq_u32_e64 s4, 0, v24
	s_waitcnt vmcnt(0)
	v_and_b32_e32 v25, 0xffff, v25
	v_lshlrev_b64 v[25:26], s10, v[25:26]
	s_add_u32 s10, s10, 8
	s_addc_u32 s11, s11, 0
	s_or_b32 s13, s4, s13
	v_or_b32_e32 v23, v26, v23
	v_or_b32_e32 v22, v25, v22
	s_andn2_b32 exec_lo, exec_lo, s13
	s_cbranch_execnz .LBB1_82
; %bb.83:                               ;   in Loop: Header=BB1_31 Depth=1
	s_or_b32 exec_lo, exec_lo, s13
.LBB1_84:                               ;   in Loop: Header=BB1_31 Depth=1
	s_or_b32 exec_lo, exec_lo, s12
                                        ; implicit-def: $vgpr8
.LBB1_85:                               ;   in Loop: Header=BB1_31 Depth=1
	s_andn2_saveexec_b32 s4, s5
	s_cbranch_execz .LBB1_87
; %bb.86:                               ;   in Loop: Header=BB1_31 Depth=1
	s_clause 0x1
	buffer_load_dword v22, v8, s[0:3], 0 offen
	buffer_load_dword v23, v8, s[0:3], 0 offen offset:4
.LBB1_87:                               ;   in Loop: Header=BB1_31 Depth=1
	s_or_b32 exec_lo, exec_lo, s4
	v_readfirstlane_b32 s4, v32
	v_mov_b32_e32 v30, 0
	v_mov_b32_e32 v31, 0
	v_cmp_eq_u32_e64 s4, s4, v32
	s_and_saveexec_b32 s10, s4
	s_cbranch_execz .LBB1_93
; %bb.88:                               ;   in Loop: Header=BB1_31 Depth=1
	global_load_dwordx2 v[26:27], v9, s[6:7] offset:24 glc dlc
	s_waitcnt vmcnt(0)
	buffer_gl1_inv
	buffer_gl0_inv
	s_clause 0x1
	global_load_dwordx2 v[24:25], v9, s[6:7] offset:40
	global_load_dwordx2 v[30:31], v9, s[6:7]
	s_mov_b32 s11, exec_lo
	s_waitcnt vmcnt(1)
	v_and_b32_e32 v8, v25, v27
	v_and_b32_e32 v24, v24, v26
	v_mul_lo_u32 v8, v8, 24
	v_mul_hi_u32 v25, v24, 24
	v_mul_lo_u32 v24, v24, 24
	v_add_nc_u32_e32 v8, v25, v8
	s_waitcnt vmcnt(0)
	v_add_co_u32 v24, s5, v30, v24
	v_add_co_ci_u32_e64 v25, null, v31, v8, s5
	global_load_dwordx2 v[24:25], v[24:25], off glc dlc
	s_waitcnt vmcnt(0)
	global_atomic_cmpswap_x2 v[30:31], v9, v[24:27], s[6:7] offset:24 glc
	s_waitcnt vmcnt(0)
	buffer_gl1_inv
	buffer_gl0_inv
	v_cmpx_ne_u64_e64 v[30:31], v[26:27]
	s_cbranch_execz .LBB1_92
; %bb.89:                               ;   in Loop: Header=BB1_31 Depth=1
	s_mov_b32 s12, 0
	.p2align	6
.LBB1_90:                               ;   Parent Loop BB1_31 Depth=1
                                        ; =>  This Inner Loop Header: Depth=2
	s_sleep 1
	s_clause 0x1
	global_load_dwordx2 v[24:25], v9, s[6:7] offset:40
	global_load_dwordx2 v[37:38], v9, s[6:7]
	v_mov_b32_e32 v26, v30
	v_mov_b32_e32 v27, v31
	s_waitcnt vmcnt(1)
	v_and_b32_e32 v8, v24, v26
	v_and_b32_e32 v24, v25, v27
	s_waitcnt vmcnt(0)
	v_mad_u64_u32 v[30:31], null, v8, 24, v[37:38]
	v_mov_b32_e32 v8, v31
	v_mad_u64_u32 v[24:25], null, v24, 24, v[8:9]
	v_mov_b32_e32 v31, v24
	global_load_dwordx2 v[24:25], v[30:31], off glc dlc
	s_waitcnt vmcnt(0)
	global_atomic_cmpswap_x2 v[30:31], v9, v[24:27], s[6:7] offset:24 glc
	s_waitcnt vmcnt(0)
	buffer_gl1_inv
	buffer_gl0_inv
	v_cmp_eq_u64_e64 s5, v[30:31], v[26:27]
	s_or_b32 s12, s5, s12
	s_andn2_b32 exec_lo, exec_lo, s12
	s_cbranch_execnz .LBB1_90
; %bb.91:                               ;   in Loop: Header=BB1_31 Depth=1
	s_or_b32 exec_lo, exec_lo, s12
.LBB1_92:                               ;   in Loop: Header=BB1_31 Depth=1
	s_or_b32 exec_lo, exec_lo, s11
.LBB1_93:                               ;   in Loop: Header=BB1_31 Depth=1
	s_or_b32 exec_lo, exec_lo, s10
	s_clause 0x1
	global_load_dwordx2 v[37:38], v9, s[6:7] offset:40
	global_load_dwordx4 v[24:27], v9, s[6:7]
	v_readfirstlane_b32 s11, v31
	v_readfirstlane_b32 s10, v30
	s_mov_b32 s16, exec_lo
	s_waitcnt vmcnt(1)
	v_readfirstlane_b32 s12, v37
	v_readfirstlane_b32 s13, v38
	s_and_b64 s[12:13], s[12:13], s[10:11]
	s_mul_i32 s5, s13, 24
	s_mul_hi_u32 s17, s12, 24
	s_mul_i32 s18, s12, 24
	s_add_i32 s17, s17, s5
	s_waitcnt vmcnt(0)
	v_add_co_u32 v30, s5, v24, s18
	v_add_co_ci_u32_e64 v31, null, s17, v25, s5
	s_and_saveexec_b32 s5, s4
	s_cbranch_execz .LBB1_95
; %bb.94:                               ;   in Loop: Header=BB1_31 Depth=1
	v_mov_b32_e32 v8, s16
	global_store_dwordx4 v[30:31], v[8:11], off offset:8
.LBB1_95:                               ;   in Loop: Header=BB1_31 Depth=1
	s_or_b32 exec_lo, exec_lo, s5
	v_cmp_gt_u64_e64 s5, 57, v[28:29]
	v_and_b32_e32 v0, 0xffffff1f, v0
	s_lshl_b64 s[12:13], s[12:13], 12
	v_cndmask_b32_e64 v8, 0, v34, s5
	v_add_co_u32 v37, s5, v26, s12
	v_add_co_ci_u32_e64 v27, null, s13, v27, s5
	v_lshl_add_u32 v26, v36, 2, 28
	v_or_b32_e32 v0, v0, v8
	v_readfirstlane_b32 s12, v37
	v_readfirstlane_b32 s13, v27
	v_and_or_b32 v0, 0x1e0, v26, v0
	v_cndmask_b32_e32 v26, 0, v29, vcc_lo
	global_store_dwordx4 v33, v[12:15], s[12:13] offset:16
	global_store_dwordx4 v33, v[0:3], s[12:13]
	global_store_dwordx4 v33, v[16:19], s[12:13] offset:32
	global_store_dwordx4 v33, v[20:23], s[12:13] offset:48
	s_and_saveexec_b32 s5, s4
	s_cbranch_execz .LBB1_103
; %bb.96:                               ;   in Loop: Header=BB1_31 Depth=1
	s_clause 0x1
	global_load_dwordx2 v[16:17], v9, s[6:7] offset:32 glc dlc
	global_load_dwordx2 v[0:1], v9, s[6:7] offset:40
	v_mov_b32_e32 v14, s10
	v_mov_b32_e32 v15, s11
	s_waitcnt vmcnt(0)
	v_readfirstlane_b32 s12, v0
	v_readfirstlane_b32 s13, v1
	s_and_b64 s[12:13], s[12:13], s[10:11]
	s_mul_i32 s13, s13, 24
	s_mul_hi_u32 s16, s12, 24
	s_mul_i32 s12, s12, 24
	s_add_i32 s16, s16, s13
	v_add_co_u32 v12, vcc_lo, v24, s12
	v_add_co_ci_u32_e64 v13, null, s16, v25, vcc_lo
	s_mov_b32 s12, exec_lo
	global_store_dwordx2 v[12:13], v[16:17], off
	s_waitcnt_vscnt null, 0x0
	global_atomic_cmpswap_x2 v[2:3], v9, v[14:17], s[6:7] offset:32 glc
	s_waitcnt vmcnt(0)
	v_cmpx_ne_u64_e64 v[2:3], v[16:17]
	s_cbranch_execz .LBB1_99
; %bb.97:                               ;   in Loop: Header=BB1_31 Depth=1
	s_mov_b32 s13, 0
.LBB1_98:                               ;   Parent Loop BB1_31 Depth=1
                                        ; =>  This Inner Loop Header: Depth=2
	v_mov_b32_e32 v0, s10
	v_mov_b32_e32 v1, s11
	s_sleep 1
	global_store_dwordx2 v[12:13], v[2:3], off
	s_waitcnt_vscnt null, 0x0
	global_atomic_cmpswap_x2 v[0:1], v9, v[0:3], s[6:7] offset:32 glc
	s_waitcnt vmcnt(0)
	v_cmp_eq_u64_e32 vcc_lo, v[0:1], v[2:3]
	v_mov_b32_e32 v3, v1
	v_mov_b32_e32 v2, v0
	s_or_b32 s13, vcc_lo, s13
	s_andn2_b32 exec_lo, exec_lo, s13
	s_cbranch_execnz .LBB1_98
.LBB1_99:                               ;   in Loop: Header=BB1_31 Depth=1
	s_or_b32 exec_lo, exec_lo, s12
	global_load_dwordx2 v[0:1], v9, s[6:7] offset:16
	s_mov_b32 s13, exec_lo
	s_mov_b32 s12, exec_lo
	v_mbcnt_lo_u32_b32 v2, s13, 0
	v_cmpx_eq_u32_e32 0, v2
	s_cbranch_execz .LBB1_101
; %bb.100:                              ;   in Loop: Header=BB1_31 Depth=1
	s_bcnt1_i32_b32 s13, s13
	v_mov_b32_e32 v8, s13
	s_waitcnt vmcnt(0)
	global_atomic_add_x2 v[0:1], v[8:9], off offset:8
.LBB1_101:                              ;   in Loop: Header=BB1_31 Depth=1
	s_or_b32 exec_lo, exec_lo, s12
	s_waitcnt vmcnt(0)
	global_load_dwordx2 v[2:3], v[0:1], off offset:16
	s_waitcnt vmcnt(0)
	v_cmp_eq_u64_e32 vcc_lo, 0, v[2:3]
	s_cbranch_vccnz .LBB1_103
; %bb.102:                              ;   in Loop: Header=BB1_31 Depth=1
	global_load_dword v8, v[0:1], off offset:24
	s_waitcnt vmcnt(0)
	v_readfirstlane_b32 s12, v8
	s_waitcnt_vscnt null, 0x0
	global_store_dwordx2 v[2:3], v[8:9], off
	s_and_b32 m0, s12, 0x7fffff
	s_sendmsg sendmsg(MSG_INTERRUPT)
.LBB1_103:                              ;   in Loop: Header=BB1_31 Depth=1
	s_or_b32 exec_lo, exec_lo, s5
	v_add_co_u32 v0, vcc_lo, v37, v33
	v_add_co_ci_u32_e64 v1, null, 0, v27, vcc_lo
	s_branch .LBB1_107
	.p2align	6
.LBB1_104:                              ;   in Loop: Header=BB1_107 Depth=2
	s_or_b32 exec_lo, exec_lo, s5
	v_readfirstlane_b32 s5, v2
	s_cmp_eq_u32 s5, 0
	s_cbranch_scc1 .LBB1_106
; %bb.105:                              ;   in Loop: Header=BB1_107 Depth=2
	s_sleep 1
	s_cbranch_execnz .LBB1_107
	s_branch .LBB1_109
	.p2align	6
.LBB1_106:                              ;   in Loop: Header=BB1_31 Depth=1
	s_branch .LBB1_109
.LBB1_107:                              ;   Parent Loop BB1_31 Depth=1
                                        ; =>  This Inner Loop Header: Depth=2
	v_mov_b32_e32 v2, 1
	s_and_saveexec_b32 s5, s4
	s_cbranch_execz .LBB1_104
; %bb.108:                              ;   in Loop: Header=BB1_107 Depth=2
	global_load_dword v2, v[30:31], off offset:20 glc dlc
	s_waitcnt vmcnt(0)
	buffer_gl1_inv
	buffer_gl0_inv
	v_and_b32_e32 v2, 1, v2
	s_branch .LBB1_104
.LBB1_109:                              ;   in Loop: Header=BB1_31 Depth=1
	global_load_dwordx2 v[0:1], v[0:1], off
	s_and_saveexec_b32 s12, s4
	s_cbranch_execz .LBB1_30
; %bb.110:                              ;   in Loop: Header=BB1_31 Depth=1
	s_clause 0x2
	global_load_dwordx2 v[2:3], v9, s[6:7] offset:40
	global_load_dwordx2 v[16:17], v9, s[6:7] offset:24 glc dlc
	global_load_dwordx2 v[12:13], v9, s[6:7]
	s_waitcnt vmcnt(2)
	v_readfirstlane_b32 s16, v2
	v_readfirstlane_b32 s17, v3
	s_add_u32 s13, s16, 1
	s_addc_u32 s18, s17, 0
	s_add_u32 s4, s13, s10
	s_addc_u32 s5, s18, s11
	s_cmp_eq_u64 s[4:5], 0
	s_cselect_b32 s5, s18, s5
	s_cselect_b32 s4, s13, s4
	v_mov_b32_e32 v15, s5
	s_and_b64 s[10:11], s[4:5], s[16:17]
	v_mov_b32_e32 v14, s4
	s_mul_i32 s11, s11, 24
	s_mul_hi_u32 s13, s10, 24
	s_mul_i32 s10, s10, 24
	s_add_i32 s13, s13, s11
	s_waitcnt vmcnt(0)
	v_add_co_u32 v2, vcc_lo, v12, s10
	v_add_co_ci_u32_e64 v3, null, s13, v13, vcc_lo
	global_store_dwordx2 v[2:3], v[16:17], off
	s_waitcnt_vscnt null, 0x0
	global_atomic_cmpswap_x2 v[14:15], v9, v[14:17], s[6:7] offset:24 glc
	s_waitcnt vmcnt(0)
	v_cmp_ne_u64_e32 vcc_lo, v[14:15], v[16:17]
	s_and_b32 exec_lo, exec_lo, vcc_lo
	s_cbranch_execz .LBB1_30
; %bb.111:                              ;   in Loop: Header=BB1_31 Depth=1
	s_mov_b32 s10, 0
.LBB1_112:                              ;   Parent Loop BB1_31 Depth=1
                                        ; =>  This Inner Loop Header: Depth=2
	v_mov_b32_e32 v12, s4
	v_mov_b32_e32 v13, s5
	s_sleep 1
	global_store_dwordx2 v[2:3], v[14:15], off
	s_waitcnt_vscnt null, 0x0
	global_atomic_cmpswap_x2 v[12:13], v9, v[12:15], s[6:7] offset:24 glc
	s_waitcnt vmcnt(0)
	v_cmp_eq_u64_e32 vcc_lo, v[12:13], v[14:15]
	v_mov_b32_e32 v15, v13
	v_mov_b32_e32 v14, v12
	s_or_b32 s10, vcc_lo, s10
	s_andn2_b32 exec_lo, exec_lo, s10
	s_cbranch_execnz .LBB1_112
	s_branch .LBB1_30
.LBB1_113:
                                        ; implicit-def: $vgpr0_vgpr1
	s_cbranch_execnz .LBB1_115
	s_branch .LBB1_142
.LBB1_114:
	s_or_b32 exec_lo, exec_lo, s14
	s_branch .LBB1_142
.LBB1_115:
	v_readfirstlane_b32 s4, v32
	v_mov_b32_e32 v9, 0
	v_mov_b32_e32 v10, 0
	v_cmp_eq_u32_e64 s4, s4, v32
	s_and_saveexec_b32 s5, s4
	s_cbranch_execz .LBB1_121
; %bb.116:
	s_waitcnt vmcnt(0)
	v_mov_b32_e32 v0, 0
	s_mov_b32 s10, exec_lo
	global_load_dwordx2 v[11:12], v0, s[6:7] offset:24 glc dlc
	s_waitcnt vmcnt(0)
	buffer_gl1_inv
	buffer_gl0_inv
	s_clause 0x1
	global_load_dwordx2 v[1:2], v0, s[6:7] offset:40
	global_load_dwordx2 v[8:9], v0, s[6:7]
	s_waitcnt vmcnt(1)
	v_and_b32_e32 v2, v2, v12
	v_and_b32_e32 v1, v1, v11
	v_mul_lo_u32 v2, v2, 24
	v_mul_hi_u32 v3, v1, 24
	v_mul_lo_u32 v1, v1, 24
	v_add_nc_u32_e32 v2, v3, v2
	s_waitcnt vmcnt(0)
	v_add_co_u32 v1, vcc_lo, v8, v1
	v_add_co_ci_u32_e64 v2, null, v9, v2, vcc_lo
	global_load_dwordx2 v[9:10], v[1:2], off glc dlc
	s_waitcnt vmcnt(0)
	global_atomic_cmpswap_x2 v[9:10], v0, v[9:12], s[6:7] offset:24 glc
	s_waitcnt vmcnt(0)
	buffer_gl1_inv
	buffer_gl0_inv
	v_cmpx_ne_u64_e64 v[9:10], v[11:12]
	s_cbranch_execz .LBB1_120
; %bb.117:
	s_mov_b32 s11, 0
	.p2align	6
.LBB1_118:                              ; =>This Inner Loop Header: Depth=1
	s_sleep 1
	s_clause 0x1
	global_load_dwordx2 v[1:2], v0, s[6:7] offset:40
	global_load_dwordx2 v[13:14], v0, s[6:7]
	v_mov_b32_e32 v12, v10
	v_mov_b32_e32 v11, v9
	s_waitcnt vmcnt(1)
	v_and_b32_e32 v1, v1, v11
	v_and_b32_e32 v2, v2, v12
	s_waitcnt vmcnt(0)
	v_mad_u64_u32 v[8:9], null, v1, 24, v[13:14]
	v_mov_b32_e32 v1, v9
	v_mad_u64_u32 v[1:2], null, v2, 24, v[1:2]
	v_mov_b32_e32 v9, v1
	global_load_dwordx2 v[9:10], v[8:9], off glc dlc
	s_waitcnt vmcnt(0)
	global_atomic_cmpswap_x2 v[9:10], v0, v[9:12], s[6:7] offset:24 glc
	s_waitcnt vmcnt(0)
	buffer_gl1_inv
	buffer_gl0_inv
	v_cmp_eq_u64_e32 vcc_lo, v[9:10], v[11:12]
	s_or_b32 s11, vcc_lo, s11
	s_andn2_b32 exec_lo, exec_lo, s11
	s_cbranch_execnz .LBB1_118
; %bb.119:
	s_or_b32 exec_lo, exec_lo, s11
.LBB1_120:
	s_or_b32 exec_lo, exec_lo, s10
.LBB1_121:
	s_or_b32 exec_lo, exec_lo, s5
	v_mov_b32_e32 v8, 0
	v_readfirstlane_b32 s11, v10
	v_readfirstlane_b32 s10, v9
	s_mov_b32 s5, exec_lo
	s_clause 0x1
	global_load_dwordx2 v[11:12], v8, s[6:7] offset:40
	global_load_dwordx4 v[0:3], v8, s[6:7]
	s_waitcnt vmcnt(1)
	v_readfirstlane_b32 s12, v11
	v_readfirstlane_b32 s13, v12
	s_and_b64 s[12:13], s[12:13], s[10:11]
	s_mul_i32 s14, s13, 24
	s_mul_hi_u32 s15, s12, 24
	s_mul_i32 s16, s12, 24
	s_add_i32 s15, s15, s14
	s_waitcnt vmcnt(0)
	v_add_co_u32 v10, vcc_lo, v0, s16
	v_add_co_ci_u32_e64 v11, null, s15, v1, vcc_lo
	s_and_saveexec_b32 s14, s4
	s_cbranch_execz .LBB1_123
; %bb.122:
	v_mov_b32_e32 v12, s5
	v_mov_b32_e32 v13, v8
	;; [unrolled: 1-line block ×4, first 2 shown]
	global_store_dwordx4 v[10:11], v[12:15], off offset:8
.LBB1_123:
	s_or_b32 exec_lo, exec_lo, s14
	s_lshl_b64 s[12:13], s[12:13], 12
	v_and_or_b32 v6, 0xffffff1f, v6, 32
	v_add_co_u32 v2, vcc_lo, v2, s12
	v_add_co_ci_u32_e64 v3, null, s13, v3, vcc_lo
	s_mov_b32 s12, 0
	v_add_co_u32 v12, vcc_lo, v2, v33
	s_mov_b32 s15, s12
	s_mov_b32 s13, s12
	;; [unrolled: 1-line block ×3, first 2 shown]
	v_mov_b32_e32 v9, v8
	v_readfirstlane_b32 s16, v2
	v_readfirstlane_b32 s17, v3
	v_mov_b32_e32 v17, s15
	v_add_co_ci_u32_e64 v13, null, 0, v3, vcc_lo
	v_mov_b32_e32 v16, s14
	v_mov_b32_e32 v15, s13
	;; [unrolled: 1-line block ×3, first 2 shown]
	global_store_dwordx4 v33, v[6:9], s[16:17]
	global_store_dwordx4 v33, v[14:17], s[16:17] offset:16
	global_store_dwordx4 v33, v[14:17], s[16:17] offset:32
	;; [unrolled: 1-line block ×3, first 2 shown]
	s_and_saveexec_b32 s5, s4
	s_cbranch_execz .LBB1_131
; %bb.124:
	v_mov_b32_e32 v8, 0
	v_mov_b32_e32 v14, s10
	;; [unrolled: 1-line block ×3, first 2 shown]
	s_clause 0x1
	global_load_dwordx2 v[16:17], v8, s[6:7] offset:32 glc dlc
	global_load_dwordx2 v[2:3], v8, s[6:7] offset:40
	s_waitcnt vmcnt(0)
	v_readfirstlane_b32 s12, v2
	v_readfirstlane_b32 s13, v3
	s_and_b64 s[12:13], s[12:13], s[10:11]
	s_mul_i32 s13, s13, 24
	s_mul_hi_u32 s14, s12, 24
	s_mul_i32 s12, s12, 24
	s_add_i32 s14, s14, s13
	v_add_co_u32 v6, vcc_lo, v0, s12
	v_add_co_ci_u32_e64 v7, null, s14, v1, vcc_lo
	s_mov_b32 s12, exec_lo
	global_store_dwordx2 v[6:7], v[16:17], off
	s_waitcnt_vscnt null, 0x0
	global_atomic_cmpswap_x2 v[2:3], v8, v[14:17], s[6:7] offset:32 glc
	s_waitcnt vmcnt(0)
	v_cmpx_ne_u64_e64 v[2:3], v[16:17]
	s_cbranch_execz .LBB1_127
; %bb.125:
	s_mov_b32 s13, 0
.LBB1_126:                              ; =>This Inner Loop Header: Depth=1
	v_mov_b32_e32 v0, s10
	v_mov_b32_e32 v1, s11
	s_sleep 1
	global_store_dwordx2 v[6:7], v[2:3], off
	s_waitcnt_vscnt null, 0x0
	global_atomic_cmpswap_x2 v[0:1], v8, v[0:3], s[6:7] offset:32 glc
	s_waitcnt vmcnt(0)
	v_cmp_eq_u64_e32 vcc_lo, v[0:1], v[2:3]
	v_mov_b32_e32 v3, v1
	v_mov_b32_e32 v2, v0
	s_or_b32 s13, vcc_lo, s13
	s_andn2_b32 exec_lo, exec_lo, s13
	s_cbranch_execnz .LBB1_126
.LBB1_127:
	s_or_b32 exec_lo, exec_lo, s12
	v_mov_b32_e32 v3, 0
	s_mov_b32 s13, exec_lo
	s_mov_b32 s12, exec_lo
	v_mbcnt_lo_u32_b32 v2, s13, 0
	global_load_dwordx2 v[0:1], v3, s[6:7] offset:16
	v_cmpx_eq_u32_e32 0, v2
	s_cbranch_execz .LBB1_129
; %bb.128:
	s_bcnt1_i32_b32 s13, s13
	v_mov_b32_e32 v2, s13
	s_waitcnt vmcnt(0)
	global_atomic_add_x2 v[0:1], v[2:3], off offset:8
.LBB1_129:
	s_or_b32 exec_lo, exec_lo, s12
	s_waitcnt vmcnt(0)
	global_load_dwordx2 v[2:3], v[0:1], off offset:16
	s_waitcnt vmcnt(0)
	v_cmp_eq_u64_e32 vcc_lo, 0, v[2:3]
	s_cbranch_vccnz .LBB1_131
; %bb.130:
	global_load_dword v0, v[0:1], off offset:24
	v_mov_b32_e32 v1, 0
	s_waitcnt vmcnt(0)
	v_readfirstlane_b32 s12, v0
	s_waitcnt_vscnt null, 0x0
	global_store_dwordx2 v[2:3], v[0:1], off
	s_and_b32 m0, s12, 0x7fffff
	s_sendmsg sendmsg(MSG_INTERRUPT)
.LBB1_131:
	s_or_b32 exec_lo, exec_lo, s5
	s_branch .LBB1_135
	.p2align	6
.LBB1_132:                              ;   in Loop: Header=BB1_135 Depth=1
	s_or_b32 exec_lo, exec_lo, s5
	v_readfirstlane_b32 s5, v0
	s_cmp_eq_u32 s5, 0
	s_cbranch_scc1 .LBB1_134
; %bb.133:                              ;   in Loop: Header=BB1_135 Depth=1
	s_sleep 1
	s_cbranch_execnz .LBB1_135
	s_branch .LBB1_137
	.p2align	6
.LBB1_134:
	s_branch .LBB1_137
.LBB1_135:                              ; =>This Inner Loop Header: Depth=1
	v_mov_b32_e32 v0, 1
	s_and_saveexec_b32 s5, s4
	s_cbranch_execz .LBB1_132
; %bb.136:                              ;   in Loop: Header=BB1_135 Depth=1
	global_load_dword v0, v[10:11], off offset:20 glc dlc
	s_waitcnt vmcnt(0)
	buffer_gl1_inv
	buffer_gl0_inv
	v_and_b32_e32 v0, 1, v0
	s_branch .LBB1_132
.LBB1_137:
	global_load_dwordx2 v[0:1], v[12:13], off
	s_and_saveexec_b32 s12, s4
	s_cbranch_execz .LBB1_141
; %bb.138:
	v_mov_b32_e32 v10, 0
	s_clause 0x2
	global_load_dwordx2 v[2:3], v10, s[6:7] offset:40
	global_load_dwordx2 v[13:14], v10, s[6:7] offset:24 glc dlc
	global_load_dwordx2 v[6:7], v10, s[6:7]
	s_waitcnt vmcnt(2)
	v_readfirstlane_b32 s14, v2
	v_readfirstlane_b32 s15, v3
	s_add_u32 s13, s14, 1
	s_addc_u32 s16, s15, 0
	s_add_u32 s4, s13, s10
	s_addc_u32 s5, s16, s11
	s_cmp_eq_u64 s[4:5], 0
	s_cselect_b32 s5, s16, s5
	s_cselect_b32 s4, s13, s4
	v_mov_b32_e32 v12, s5
	s_and_b64 s[10:11], s[4:5], s[14:15]
	v_mov_b32_e32 v11, s4
	s_mul_i32 s11, s11, 24
	s_mul_hi_u32 s13, s10, 24
	s_mul_i32 s10, s10, 24
	s_add_i32 s13, s13, s11
	s_waitcnt vmcnt(0)
	v_add_co_u32 v2, vcc_lo, v6, s10
	v_add_co_ci_u32_e64 v3, null, s13, v7, vcc_lo
	global_store_dwordx2 v[2:3], v[13:14], off
	s_waitcnt_vscnt null, 0x0
	global_atomic_cmpswap_x2 v[8:9], v10, v[11:14], s[6:7] offset:24 glc
	s_waitcnt vmcnt(0)
	v_cmp_ne_u64_e32 vcc_lo, v[8:9], v[13:14]
	s_and_b32 exec_lo, exec_lo, vcc_lo
	s_cbranch_execz .LBB1_141
; %bb.139:
	s_mov_b32 s10, 0
.LBB1_140:                              ; =>This Inner Loop Header: Depth=1
	v_mov_b32_e32 v6, s4
	v_mov_b32_e32 v7, s5
	s_sleep 1
	global_store_dwordx2 v[2:3], v[8:9], off
	s_waitcnt_vscnt null, 0x0
	global_atomic_cmpswap_x2 v[6:7], v10, v[6:9], s[6:7] offset:24 glc
	s_waitcnt vmcnt(0)
	v_cmp_eq_u64_e32 vcc_lo, v[6:7], v[8:9]
	v_mov_b32_e32 v9, v7
	v_mov_b32_e32 v8, v6
	s_or_b32 s10, vcc_lo, s10
	s_andn2_b32 exec_lo, exec_lo, s10
	s_cbranch_execnz .LBB1_140
.LBB1_141:
	s_or_b32 exec_lo, exec_lo, s12
.LBB1_142:
	s_getpc_b64 s[10:11]
	s_add_u32 s10, s10, .str.4@rel32@lo+4
	s_addc_u32 s11, s11, .str.4@rel32@hi+12
	s_cmp_lg_u64 s[10:11], 0
	s_cbranch_scc0 .LBB1_220
; %bb.143:
	s_getpc_b64 s[4:5]
	s_add_u32 s4, s4, .str.4@rel32@lo+80
	s_addc_u32 s5, s5, .str.4@rel32@hi+88
	s_waitcnt vmcnt(0)
	v_and_b32_e32 v30, 2, v0
	v_mov_b32_e32 v11, 0
	v_and_b32_e32 v6, -3, v0
	v_mov_b32_e32 v7, v1
	v_mov_b32_e32 v12, 2
	;; [unrolled: 1-line block ×3, first 2 shown]
	s_sub_i32 s12, s4, s10
	s_ashr_i32 s13, s12, 31
	s_branch .LBB1_145
.LBB1_144:                              ;   in Loop: Header=BB1_145 Depth=1
	s_or_b32 exec_lo, exec_lo, s18
	s_sub_u32 s12, s12, s14
	s_subb_u32 s13, s13, s15
	s_add_u32 s10, s10, s14
	s_addc_u32 s11, s11, s15
	s_cmp_lg_u64 s[12:13], 0
	s_cbranch_scc0 .LBB1_221
.LBB1_145:                              ; =>This Loop Header: Depth=1
                                        ;     Child Loop BB1_148 Depth 2
                                        ;     Child Loop BB1_155 Depth 2
                                        ;     Child Loop BB1_162 Depth 2
                                        ;     Child Loop BB1_169 Depth 2
                                        ;     Child Loop BB1_176 Depth 2
                                        ;     Child Loop BB1_183 Depth 2
                                        ;     Child Loop BB1_190 Depth 2
                                        ;     Child Loop BB1_197 Depth 2
                                        ;     Child Loop BB1_205 Depth 2
                                        ;     Child Loop BB1_214 Depth 2
                                        ;     Child Loop BB1_219 Depth 2
	v_cmp_lt_u64_e64 s4, s[12:13], 56
	v_cmp_gt_u64_e64 s16, s[12:13], 7
	s_and_b32 s4, s4, exec_lo
	s_cselect_b32 s15, s13, 0
	s_cselect_b32 s14, s12, 56
	s_add_u32 s4, s10, 8
	s_addc_u32 s5, s11, 0
	s_and_b32 vcc_lo, exec_lo, s16
	s_cbranch_vccnz .LBB1_150
; %bb.146:                              ;   in Loop: Header=BB1_145 Depth=1
	v_mov_b32_e32 v8, 0
	v_mov_b32_e32 v9, 0
	s_cmp_eq_u64 s[12:13], 0
	s_cbranch_scc1 .LBB1_149
; %bb.147:                              ;   in Loop: Header=BB1_145 Depth=1
	s_lshl_b64 s[4:5], s[14:15], 3
	s_mov_b64 s[16:17], 0
	s_mov_b64 s[18:19], s[10:11]
.LBB1_148:                              ;   Parent Loop BB1_145 Depth=1
                                        ; =>  This Inner Loop Header: Depth=2
	global_load_ubyte v2, v11, s[18:19]
	s_waitcnt vmcnt(0)
	v_and_b32_e32 v10, 0xffff, v2
	v_lshlrev_b64 v[2:3], s16, v[10:11]
	s_add_u32 s16, s16, 8
	s_addc_u32 s17, s17, 0
	s_add_u32 s18, s18, 1
	s_addc_u32 s19, s19, 0
	s_cmp_lg_u32 s4, s16
	v_or_b32_e32 v8, v2, v8
	v_or_b32_e32 v9, v3, v9
	s_cbranch_scc1 .LBB1_148
.LBB1_149:                              ;   in Loop: Header=BB1_145 Depth=1
	s_mov_b64 s[4:5], s[10:11]
	s_mov_b32 s20, 0
	s_cbranch_execz .LBB1_151
	s_branch .LBB1_152
.LBB1_150:                              ;   in Loop: Header=BB1_145 Depth=1
	s_mov_b32 s20, 0
.LBB1_151:                              ;   in Loop: Header=BB1_145 Depth=1
	global_load_dwordx2 v[8:9], v11, s[10:11]
	s_add_i32 s20, s14, -8
.LBB1_152:                              ;   in Loop: Header=BB1_145 Depth=1
	s_add_u32 s16, s4, 8
	s_addc_u32 s17, s5, 0
	s_cmp_gt_u32 s20, 7
	s_cbranch_scc1 .LBB1_157
; %bb.153:                              ;   in Loop: Header=BB1_145 Depth=1
	v_mov_b32_e32 v14, 0
	v_mov_b32_e32 v15, 0
	s_cmp_eq_u32 s20, 0
	s_cbranch_scc1 .LBB1_156
; %bb.154:                              ;   in Loop: Header=BB1_145 Depth=1
	s_mov_b64 s[16:17], 0
	s_mov_b64 s[18:19], 0
.LBB1_155:                              ;   Parent Loop BB1_145 Depth=1
                                        ; =>  This Inner Loop Header: Depth=2
	s_add_u32 s22, s4, s18
	s_addc_u32 s23, s5, s19
	s_add_u32 s18, s18, 1
	global_load_ubyte v2, v11, s[22:23]
	s_addc_u32 s19, s19, 0
	s_waitcnt vmcnt(0)
	v_and_b32_e32 v10, 0xffff, v2
	v_lshlrev_b64 v[2:3], s16, v[10:11]
	s_add_u32 s16, s16, 8
	s_addc_u32 s17, s17, 0
	s_cmp_lg_u32 s20, s18
	v_or_b32_e32 v14, v2, v14
	v_or_b32_e32 v15, v3, v15
	s_cbranch_scc1 .LBB1_155
.LBB1_156:                              ;   in Loop: Header=BB1_145 Depth=1
	s_mov_b64 s[16:17], s[4:5]
	s_mov_b32 s21, 0
	s_cbranch_execz .LBB1_158
	s_branch .LBB1_159
.LBB1_157:                              ;   in Loop: Header=BB1_145 Depth=1
                                        ; implicit-def: $vgpr14_vgpr15
	s_mov_b32 s21, 0
.LBB1_158:                              ;   in Loop: Header=BB1_145 Depth=1
	global_load_dwordx2 v[14:15], v11, s[4:5]
	s_add_i32 s21, s20, -8
.LBB1_159:                              ;   in Loop: Header=BB1_145 Depth=1
	s_add_u32 s4, s16, 8
	s_addc_u32 s5, s17, 0
	s_cmp_gt_u32 s21, 7
	s_cbranch_scc1 .LBB1_164
; %bb.160:                              ;   in Loop: Header=BB1_145 Depth=1
	v_mov_b32_e32 v16, 0
	v_mov_b32_e32 v17, 0
	s_cmp_eq_u32 s21, 0
	s_cbranch_scc1 .LBB1_163
; %bb.161:                              ;   in Loop: Header=BB1_145 Depth=1
	s_mov_b64 s[4:5], 0
	s_mov_b64 s[18:19], 0
.LBB1_162:                              ;   Parent Loop BB1_145 Depth=1
                                        ; =>  This Inner Loop Header: Depth=2
	s_add_u32 s22, s16, s18
	s_addc_u32 s23, s17, s19
	s_add_u32 s18, s18, 1
	global_load_ubyte v2, v11, s[22:23]
	s_addc_u32 s19, s19, 0
	s_waitcnt vmcnt(0)
	v_and_b32_e32 v10, 0xffff, v2
	v_lshlrev_b64 v[2:3], s4, v[10:11]
	s_add_u32 s4, s4, 8
	s_addc_u32 s5, s5, 0
	s_cmp_lg_u32 s21, s18
	v_or_b32_e32 v16, v2, v16
	v_or_b32_e32 v17, v3, v17
	s_cbranch_scc1 .LBB1_162
.LBB1_163:                              ;   in Loop: Header=BB1_145 Depth=1
	s_mov_b64 s[4:5], s[16:17]
	s_mov_b32 s20, 0
	s_cbranch_execz .LBB1_165
	s_branch .LBB1_166
.LBB1_164:                              ;   in Loop: Header=BB1_145 Depth=1
	s_mov_b32 s20, 0
.LBB1_165:                              ;   in Loop: Header=BB1_145 Depth=1
	global_load_dwordx2 v[16:17], v11, s[16:17]
	s_add_i32 s20, s21, -8
.LBB1_166:                              ;   in Loop: Header=BB1_145 Depth=1
	s_add_u32 s16, s4, 8
	s_addc_u32 s17, s5, 0
	s_cmp_gt_u32 s20, 7
	s_cbranch_scc1 .LBB1_171
; %bb.167:                              ;   in Loop: Header=BB1_145 Depth=1
	v_mov_b32_e32 v18, 0
	v_mov_b32_e32 v19, 0
	s_cmp_eq_u32 s20, 0
	s_cbranch_scc1 .LBB1_170
; %bb.168:                              ;   in Loop: Header=BB1_145 Depth=1
	s_mov_b64 s[16:17], 0
	s_mov_b64 s[18:19], 0
.LBB1_169:                              ;   Parent Loop BB1_145 Depth=1
                                        ; =>  This Inner Loop Header: Depth=2
	s_add_u32 s22, s4, s18
	s_addc_u32 s23, s5, s19
	s_add_u32 s18, s18, 1
	global_load_ubyte v2, v11, s[22:23]
	s_addc_u32 s19, s19, 0
	s_waitcnt vmcnt(0)
	v_and_b32_e32 v10, 0xffff, v2
	v_lshlrev_b64 v[2:3], s16, v[10:11]
	s_add_u32 s16, s16, 8
	s_addc_u32 s17, s17, 0
	s_cmp_lg_u32 s20, s18
	v_or_b32_e32 v18, v2, v18
	v_or_b32_e32 v19, v3, v19
	s_cbranch_scc1 .LBB1_169
.LBB1_170:                              ;   in Loop: Header=BB1_145 Depth=1
	s_mov_b64 s[16:17], s[4:5]
	s_mov_b32 s21, 0
	s_cbranch_execz .LBB1_172
	s_branch .LBB1_173
.LBB1_171:                              ;   in Loop: Header=BB1_145 Depth=1
                                        ; implicit-def: $vgpr18_vgpr19
	s_mov_b32 s21, 0
.LBB1_172:                              ;   in Loop: Header=BB1_145 Depth=1
	global_load_dwordx2 v[18:19], v11, s[4:5]
	s_add_i32 s21, s20, -8
.LBB1_173:                              ;   in Loop: Header=BB1_145 Depth=1
	s_add_u32 s4, s16, 8
	s_addc_u32 s5, s17, 0
	s_cmp_gt_u32 s21, 7
	s_cbranch_scc1 .LBB1_178
; %bb.174:                              ;   in Loop: Header=BB1_145 Depth=1
	v_mov_b32_e32 v20, 0
	v_mov_b32_e32 v21, 0
	s_cmp_eq_u32 s21, 0
	s_cbranch_scc1 .LBB1_177
; %bb.175:                              ;   in Loop: Header=BB1_145 Depth=1
	s_mov_b64 s[4:5], 0
	s_mov_b64 s[18:19], 0
.LBB1_176:                              ;   Parent Loop BB1_145 Depth=1
                                        ; =>  This Inner Loop Header: Depth=2
	s_add_u32 s22, s16, s18
	s_addc_u32 s23, s17, s19
	s_add_u32 s18, s18, 1
	global_load_ubyte v2, v11, s[22:23]
	s_addc_u32 s19, s19, 0
	s_waitcnt vmcnt(0)
	v_and_b32_e32 v10, 0xffff, v2
	v_lshlrev_b64 v[2:3], s4, v[10:11]
	s_add_u32 s4, s4, 8
	s_addc_u32 s5, s5, 0
	s_cmp_lg_u32 s21, s18
	v_or_b32_e32 v20, v2, v20
	v_or_b32_e32 v21, v3, v21
	s_cbranch_scc1 .LBB1_176
.LBB1_177:                              ;   in Loop: Header=BB1_145 Depth=1
	s_mov_b64 s[4:5], s[16:17]
	s_mov_b32 s20, 0
	s_cbranch_execz .LBB1_179
	s_branch .LBB1_180
.LBB1_178:                              ;   in Loop: Header=BB1_145 Depth=1
	s_mov_b32 s20, 0
.LBB1_179:                              ;   in Loop: Header=BB1_145 Depth=1
	global_load_dwordx2 v[20:21], v11, s[16:17]
	s_add_i32 s20, s21, -8
.LBB1_180:                              ;   in Loop: Header=BB1_145 Depth=1
	s_add_u32 s16, s4, 8
	s_addc_u32 s17, s5, 0
	s_cmp_gt_u32 s20, 7
	s_cbranch_scc1 .LBB1_185
; %bb.181:                              ;   in Loop: Header=BB1_145 Depth=1
	v_mov_b32_e32 v22, 0
	v_mov_b32_e32 v23, 0
	s_cmp_eq_u32 s20, 0
	s_cbranch_scc1 .LBB1_184
; %bb.182:                              ;   in Loop: Header=BB1_145 Depth=1
	s_mov_b64 s[16:17], 0
	s_mov_b64 s[18:19], 0
.LBB1_183:                              ;   Parent Loop BB1_145 Depth=1
                                        ; =>  This Inner Loop Header: Depth=2
	s_add_u32 s22, s4, s18
	s_addc_u32 s23, s5, s19
	s_add_u32 s18, s18, 1
	global_load_ubyte v2, v11, s[22:23]
	s_addc_u32 s19, s19, 0
	s_waitcnt vmcnt(0)
	v_and_b32_e32 v10, 0xffff, v2
	v_lshlrev_b64 v[2:3], s16, v[10:11]
	s_add_u32 s16, s16, 8
	s_addc_u32 s17, s17, 0
	s_cmp_lg_u32 s20, s18
	v_or_b32_e32 v22, v2, v22
	v_or_b32_e32 v23, v3, v23
	s_cbranch_scc1 .LBB1_183
.LBB1_184:                              ;   in Loop: Header=BB1_145 Depth=1
	s_mov_b64 s[16:17], s[4:5]
	s_mov_b32 s21, 0
	s_cbranch_execz .LBB1_186
	s_branch .LBB1_187
.LBB1_185:                              ;   in Loop: Header=BB1_145 Depth=1
                                        ; implicit-def: $vgpr22_vgpr23
	s_mov_b32 s21, 0
.LBB1_186:                              ;   in Loop: Header=BB1_145 Depth=1
	global_load_dwordx2 v[22:23], v11, s[4:5]
	s_add_i32 s21, s20, -8
.LBB1_187:                              ;   in Loop: Header=BB1_145 Depth=1
	s_cmp_gt_u32 s21, 7
	s_cbranch_scc1 .LBB1_192
; %bb.188:                              ;   in Loop: Header=BB1_145 Depth=1
	v_mov_b32_e32 v24, 0
	v_mov_b32_e32 v25, 0
	s_cmp_eq_u32 s21, 0
	s_cbranch_scc1 .LBB1_191
; %bb.189:                              ;   in Loop: Header=BB1_145 Depth=1
	s_mov_b64 s[4:5], 0
	s_mov_b64 s[18:19], s[16:17]
.LBB1_190:                              ;   Parent Loop BB1_145 Depth=1
                                        ; =>  This Inner Loop Header: Depth=2
	global_load_ubyte v2, v11, s[18:19]
	s_add_i32 s21, s21, -1
	s_waitcnt vmcnt(0)
	v_and_b32_e32 v10, 0xffff, v2
	v_lshlrev_b64 v[2:3], s4, v[10:11]
	s_add_u32 s4, s4, 8
	s_addc_u32 s5, s5, 0
	s_add_u32 s18, s18, 1
	s_addc_u32 s19, s19, 0
	s_cmp_lg_u32 s21, 0
	v_or_b32_e32 v24, v2, v24
	v_or_b32_e32 v25, v3, v25
	s_cbranch_scc1 .LBB1_190
.LBB1_191:                              ;   in Loop: Header=BB1_145 Depth=1
	s_cbranch_execz .LBB1_193
	s_branch .LBB1_194
.LBB1_192:                              ;   in Loop: Header=BB1_145 Depth=1
.LBB1_193:                              ;   in Loop: Header=BB1_145 Depth=1
	global_load_dwordx2 v[24:25], v11, s[16:17]
.LBB1_194:                              ;   in Loop: Header=BB1_145 Depth=1
	v_readfirstlane_b32 s4, v32
	v_mov_b32_e32 v2, 0
	v_mov_b32_e32 v3, 0
	v_cmp_eq_u32_e64 s4, s4, v32
	s_and_saveexec_b32 s5, s4
	s_cbranch_execz .LBB1_200
; %bb.195:                              ;   in Loop: Header=BB1_145 Depth=1
	global_load_dwordx2 v[28:29], v11, s[6:7] offset:24 glc dlc
	s_waitcnt vmcnt(0)
	buffer_gl1_inv
	buffer_gl0_inv
	s_clause 0x1
	global_load_dwordx2 v[2:3], v11, s[6:7] offset:40
	global_load_dwordx2 v[26:27], v11, s[6:7]
	s_mov_b32 s16, exec_lo
	s_waitcnt vmcnt(1)
	v_and_b32_e32 v3, v3, v29
	v_and_b32_e32 v2, v2, v28
	v_mul_lo_u32 v3, v3, 24
	v_mul_hi_u32 v10, v2, 24
	v_mul_lo_u32 v2, v2, 24
	v_add_nc_u32_e32 v3, v10, v3
	s_waitcnt vmcnt(0)
	v_add_co_u32 v2, vcc_lo, v26, v2
	v_add_co_ci_u32_e64 v3, null, v27, v3, vcc_lo
	global_load_dwordx2 v[26:27], v[2:3], off glc dlc
	s_waitcnt vmcnt(0)
	global_atomic_cmpswap_x2 v[2:3], v11, v[26:29], s[6:7] offset:24 glc
	s_waitcnt vmcnt(0)
	buffer_gl1_inv
	buffer_gl0_inv
	v_cmpx_ne_u64_e64 v[2:3], v[28:29]
	s_cbranch_execz .LBB1_199
; %bb.196:                              ;   in Loop: Header=BB1_145 Depth=1
	s_mov_b32 s17, 0
	.p2align	6
.LBB1_197:                              ;   Parent Loop BB1_145 Depth=1
                                        ; =>  This Inner Loop Header: Depth=2
	s_sleep 1
	s_clause 0x1
	global_load_dwordx2 v[26:27], v11, s[6:7] offset:40
	global_load_dwordx2 v[34:35], v11, s[6:7]
	v_mov_b32_e32 v29, v3
	v_mov_b32_e32 v28, v2
	s_waitcnt vmcnt(1)
	v_and_b32_e32 v2, v26, v28
	v_and_b32_e32 v10, v27, v29
	s_waitcnt vmcnt(0)
	v_mad_u64_u32 v[2:3], null, v2, 24, v[34:35]
	v_mad_u64_u32 v[26:27], null, v10, 24, v[3:4]
	v_mov_b32_e32 v3, v26
	global_load_dwordx2 v[26:27], v[2:3], off glc dlc
	s_waitcnt vmcnt(0)
	global_atomic_cmpswap_x2 v[2:3], v11, v[26:29], s[6:7] offset:24 glc
	s_waitcnt vmcnt(0)
	buffer_gl1_inv
	buffer_gl0_inv
	v_cmp_eq_u64_e32 vcc_lo, v[2:3], v[28:29]
	s_or_b32 s17, vcc_lo, s17
	s_andn2_b32 exec_lo, exec_lo, s17
	s_cbranch_execnz .LBB1_197
; %bb.198:                              ;   in Loop: Header=BB1_145 Depth=1
	s_or_b32 exec_lo, exec_lo, s17
.LBB1_199:                              ;   in Loop: Header=BB1_145 Depth=1
	s_or_b32 exec_lo, exec_lo, s16
.LBB1_200:                              ;   in Loop: Header=BB1_145 Depth=1
	s_or_b32 exec_lo, exec_lo, s5
	s_clause 0x1
	global_load_dwordx2 v[34:35], v11, s[6:7] offset:40
	global_load_dwordx4 v[26:29], v11, s[6:7]
	v_readfirstlane_b32 s17, v3
	v_readfirstlane_b32 s16, v2
	s_mov_b32 s5, exec_lo
	s_waitcnt vmcnt(1)
	v_readfirstlane_b32 s18, v34
	v_readfirstlane_b32 s19, v35
	s_and_b64 s[18:19], s[18:19], s[16:17]
	s_mul_i32 s20, s19, 24
	s_mul_hi_u32 s21, s18, 24
	s_mul_i32 s22, s18, 24
	s_add_i32 s21, s21, s20
	s_waitcnt vmcnt(0)
	v_add_co_u32 v2, vcc_lo, v26, s22
	v_add_co_ci_u32_e64 v3, null, s21, v27, vcc_lo
	s_and_saveexec_b32 s20, s4
	s_cbranch_execz .LBB1_202
; %bb.201:                              ;   in Loop: Header=BB1_145 Depth=1
	v_mov_b32_e32 v10, s5
	global_store_dwordx4 v[2:3], v[10:13], off offset:8
.LBB1_202:                              ;   in Loop: Header=BB1_145 Depth=1
	s_or_b32 exec_lo, exec_lo, s20
	v_cmp_lt_u64_e64 vcc_lo, s[12:13], 57
	s_lshl_b64 s[18:19], s[18:19], 12
	v_and_b32_e32 v6, 0xffffff1f, v6
	s_lshl_b32 s5, s14, 2
	s_add_i32 s5, s5, 28
	v_cndmask_b32_e32 v10, 0, v30, vcc_lo
	v_add_co_u32 v28, vcc_lo, v28, s18
	v_add_co_ci_u32_e64 v29, null, s19, v29, vcc_lo
	v_or_b32_e32 v6, v6, v10
	v_readfirstlane_b32 s18, v28
	v_readfirstlane_b32 s19, v29
	v_and_or_b32 v6, 0x1e0, s5, v6
	global_store_dwordx4 v33, v[14:17], s[18:19] offset:16
	global_store_dwordx4 v33, v[6:9], s[18:19]
	global_store_dwordx4 v33, v[18:21], s[18:19] offset:32
	global_store_dwordx4 v33, v[22:25], s[18:19] offset:48
	s_and_saveexec_b32 s5, s4
	s_cbranch_execz .LBB1_210
; %bb.203:                              ;   in Loop: Header=BB1_145 Depth=1
	s_clause 0x1
	global_load_dwordx2 v[18:19], v11, s[6:7] offset:32 glc dlc
	global_load_dwordx2 v[6:7], v11, s[6:7] offset:40
	v_mov_b32_e32 v16, s16
	v_mov_b32_e32 v17, s17
	s_waitcnt vmcnt(0)
	v_readfirstlane_b32 s18, v6
	v_readfirstlane_b32 s19, v7
	s_and_b64 s[18:19], s[18:19], s[16:17]
	s_mul_i32 s19, s19, 24
	s_mul_hi_u32 s20, s18, 24
	s_mul_i32 s18, s18, 24
	s_add_i32 s20, s20, s19
	v_add_co_u32 v14, vcc_lo, v26, s18
	v_add_co_ci_u32_e64 v15, null, s20, v27, vcc_lo
	s_mov_b32 s18, exec_lo
	global_store_dwordx2 v[14:15], v[18:19], off
	s_waitcnt_vscnt null, 0x0
	global_atomic_cmpswap_x2 v[8:9], v11, v[16:19], s[6:7] offset:32 glc
	s_waitcnt vmcnt(0)
	v_cmpx_ne_u64_e64 v[8:9], v[18:19]
	s_cbranch_execz .LBB1_206
; %bb.204:                              ;   in Loop: Header=BB1_145 Depth=1
	s_mov_b32 s19, 0
.LBB1_205:                              ;   Parent Loop BB1_145 Depth=1
                                        ; =>  This Inner Loop Header: Depth=2
	v_mov_b32_e32 v6, s16
	v_mov_b32_e32 v7, s17
	s_sleep 1
	global_store_dwordx2 v[14:15], v[8:9], off
	s_waitcnt_vscnt null, 0x0
	global_atomic_cmpswap_x2 v[6:7], v11, v[6:9], s[6:7] offset:32 glc
	s_waitcnt vmcnt(0)
	v_cmp_eq_u64_e32 vcc_lo, v[6:7], v[8:9]
	v_mov_b32_e32 v9, v7
	v_mov_b32_e32 v8, v6
	s_or_b32 s19, vcc_lo, s19
	s_andn2_b32 exec_lo, exec_lo, s19
	s_cbranch_execnz .LBB1_205
.LBB1_206:                              ;   in Loop: Header=BB1_145 Depth=1
	s_or_b32 exec_lo, exec_lo, s18
	global_load_dwordx2 v[6:7], v11, s[6:7] offset:16
	s_mov_b32 s19, exec_lo
	s_mov_b32 s18, exec_lo
	v_mbcnt_lo_u32_b32 v8, s19, 0
	v_cmpx_eq_u32_e32 0, v8
	s_cbranch_execz .LBB1_208
; %bb.207:                              ;   in Loop: Header=BB1_145 Depth=1
	s_bcnt1_i32_b32 s19, s19
	v_mov_b32_e32 v10, s19
	s_waitcnt vmcnt(0)
	global_atomic_add_x2 v[6:7], v[10:11], off offset:8
.LBB1_208:                              ;   in Loop: Header=BB1_145 Depth=1
	s_or_b32 exec_lo, exec_lo, s18
	s_waitcnt vmcnt(0)
	global_load_dwordx2 v[8:9], v[6:7], off offset:16
	s_waitcnt vmcnt(0)
	v_cmp_eq_u64_e32 vcc_lo, 0, v[8:9]
	s_cbranch_vccnz .LBB1_210
; %bb.209:                              ;   in Loop: Header=BB1_145 Depth=1
	global_load_dword v10, v[6:7], off offset:24
	s_waitcnt vmcnt(0)
	v_readfirstlane_b32 s18, v10
	s_waitcnt_vscnt null, 0x0
	global_store_dwordx2 v[8:9], v[10:11], off
	s_and_b32 m0, s18, 0x7fffff
	s_sendmsg sendmsg(MSG_INTERRUPT)
.LBB1_210:                              ;   in Loop: Header=BB1_145 Depth=1
	s_or_b32 exec_lo, exec_lo, s5
	v_add_co_u32 v6, vcc_lo, v28, v33
	v_add_co_ci_u32_e64 v7, null, 0, v29, vcc_lo
	s_branch .LBB1_214
	.p2align	6
.LBB1_211:                              ;   in Loop: Header=BB1_214 Depth=2
	s_or_b32 exec_lo, exec_lo, s5
	v_readfirstlane_b32 s5, v8
	s_cmp_eq_u32 s5, 0
	s_cbranch_scc1 .LBB1_213
; %bb.212:                              ;   in Loop: Header=BB1_214 Depth=2
	s_sleep 1
	s_cbranch_execnz .LBB1_214
	s_branch .LBB1_216
	.p2align	6
.LBB1_213:                              ;   in Loop: Header=BB1_145 Depth=1
	s_branch .LBB1_216
.LBB1_214:                              ;   Parent Loop BB1_145 Depth=1
                                        ; =>  This Inner Loop Header: Depth=2
	v_mov_b32_e32 v8, 1
	s_and_saveexec_b32 s5, s4
	s_cbranch_execz .LBB1_211
; %bb.215:                              ;   in Loop: Header=BB1_214 Depth=2
	global_load_dword v8, v[2:3], off offset:20 glc dlc
	s_waitcnt vmcnt(0)
	buffer_gl1_inv
	buffer_gl0_inv
	v_and_b32_e32 v8, 1, v8
	s_branch .LBB1_211
.LBB1_216:                              ;   in Loop: Header=BB1_145 Depth=1
	global_load_dwordx2 v[6:7], v[6:7], off
	s_and_saveexec_b32 s18, s4
	s_cbranch_execz .LBB1_144
; %bb.217:                              ;   in Loop: Header=BB1_145 Depth=1
	s_clause 0x2
	global_load_dwordx2 v[2:3], v11, s[6:7] offset:40
	global_load_dwordx2 v[18:19], v11, s[6:7] offset:24 glc dlc
	global_load_dwordx2 v[8:9], v11, s[6:7]
	s_waitcnt vmcnt(2)
	v_readfirstlane_b32 s20, v2
	v_readfirstlane_b32 s21, v3
	s_add_u32 s19, s20, 1
	s_addc_u32 s22, s21, 0
	s_add_u32 s4, s19, s16
	s_addc_u32 s5, s22, s17
	s_cmp_eq_u64 s[4:5], 0
	s_cselect_b32 s5, s22, s5
	s_cselect_b32 s4, s19, s4
	v_mov_b32_e32 v17, s5
	s_and_b64 s[16:17], s[4:5], s[20:21]
	v_mov_b32_e32 v16, s4
	s_mul_i32 s17, s17, 24
	s_mul_hi_u32 s19, s16, 24
	s_mul_i32 s16, s16, 24
	s_add_i32 s19, s19, s17
	s_waitcnt vmcnt(0)
	v_add_co_u32 v2, vcc_lo, v8, s16
	v_add_co_ci_u32_e64 v3, null, s19, v9, vcc_lo
	global_store_dwordx2 v[2:3], v[18:19], off
	s_waitcnt_vscnt null, 0x0
	global_atomic_cmpswap_x2 v[16:17], v11, v[16:19], s[6:7] offset:24 glc
	s_waitcnt vmcnt(0)
	v_cmp_ne_u64_e32 vcc_lo, v[16:17], v[18:19]
	s_and_b32 exec_lo, exec_lo, vcc_lo
	s_cbranch_execz .LBB1_144
; %bb.218:                              ;   in Loop: Header=BB1_145 Depth=1
	s_mov_b32 s16, 0
.LBB1_219:                              ;   Parent Loop BB1_145 Depth=1
                                        ; =>  This Inner Loop Header: Depth=2
	v_mov_b32_e32 v14, s4
	v_mov_b32_e32 v15, s5
	s_sleep 1
	global_store_dwordx2 v[2:3], v[16:17], off
	s_waitcnt_vscnt null, 0x0
	global_atomic_cmpswap_x2 v[8:9], v11, v[14:17], s[6:7] offset:24 glc
	s_waitcnt vmcnt(0)
	v_cmp_eq_u64_e32 vcc_lo, v[8:9], v[16:17]
	v_mov_b32_e32 v17, v9
	v_mov_b32_e32 v16, v8
	s_or_b32 s16, vcc_lo, s16
	s_andn2_b32 exec_lo, exec_lo, s16
	s_cbranch_execnz .LBB1_219
	s_branch .LBB1_144
.LBB1_220:
                                        ; implicit-def: $vgpr6_vgpr7
	s_cbranch_execnz .LBB1_222
	s_branch .LBB1_249
.LBB1_221:
	s_branch .LBB1_249
.LBB1_222:
	v_readfirstlane_b32 s4, v32
	v_mov_b32_e32 v10, 0
	v_mov_b32_e32 v11, 0
	v_cmp_eq_u32_e64 s4, s4, v32
	s_and_saveexec_b32 s5, s4
	s_cbranch_execz .LBB1_228
; %bb.223:
	v_mov_b32_e32 v2, 0
	s_mov_b32 s10, exec_lo
	global_load_dwordx2 v[8:9], v2, s[6:7] offset:24 glc dlc
	s_waitcnt vmcnt(0)
	buffer_gl1_inv
	buffer_gl0_inv
	s_clause 0x1
	global_load_dwordx2 v[6:7], v2, s[6:7] offset:40
	global_load_dwordx2 v[10:11], v2, s[6:7]
	s_waitcnt vmcnt(1)
	v_and_b32_e32 v3, v7, v9
	v_and_b32_e32 v6, v6, v8
	v_mul_lo_u32 v3, v3, 24
	v_mul_hi_u32 v7, v6, 24
	v_mul_lo_u32 v6, v6, 24
	v_add_nc_u32_e32 v3, v7, v3
	s_waitcnt vmcnt(0)
	v_add_co_u32 v6, vcc_lo, v10, v6
	v_add_co_ci_u32_e64 v7, null, v11, v3, vcc_lo
	global_load_dwordx2 v[6:7], v[6:7], off glc dlc
	s_waitcnt vmcnt(0)
	global_atomic_cmpswap_x2 v[10:11], v2, v[6:9], s[6:7] offset:24 glc
	s_waitcnt vmcnt(0)
	buffer_gl1_inv
	buffer_gl0_inv
	v_cmpx_ne_u64_e64 v[10:11], v[8:9]
	s_cbranch_execz .LBB1_227
; %bb.224:
	s_mov_b32 s11, 0
	.p2align	6
.LBB1_225:                              ; =>This Inner Loop Header: Depth=1
	s_sleep 1
	s_clause 0x1
	global_load_dwordx2 v[6:7], v2, s[6:7] offset:40
	global_load_dwordx2 v[12:13], v2, s[6:7]
	v_mov_b32_e32 v8, v10
	v_mov_b32_e32 v9, v11
	s_waitcnt vmcnt(1)
	v_and_b32_e32 v3, v6, v8
	v_and_b32_e32 v6, v7, v9
	s_waitcnt vmcnt(0)
	v_mad_u64_u32 v[10:11], null, v3, 24, v[12:13]
	v_mov_b32_e32 v3, v11
	v_mad_u64_u32 v[6:7], null, v6, 24, v[3:4]
	v_mov_b32_e32 v11, v6
	global_load_dwordx2 v[6:7], v[10:11], off glc dlc
	s_waitcnt vmcnt(0)
	global_atomic_cmpswap_x2 v[10:11], v2, v[6:9], s[6:7] offset:24 glc
	s_waitcnt vmcnt(0)
	buffer_gl1_inv
	buffer_gl0_inv
	v_cmp_eq_u64_e32 vcc_lo, v[10:11], v[8:9]
	s_or_b32 s11, vcc_lo, s11
	s_andn2_b32 exec_lo, exec_lo, s11
	s_cbranch_execnz .LBB1_225
; %bb.226:
	s_or_b32 exec_lo, exec_lo, s11
.LBB1_227:
	s_or_b32 exec_lo, exec_lo, s10
.LBB1_228:
	s_or_b32 exec_lo, exec_lo, s5
	v_mov_b32_e32 v2, 0
	v_readfirstlane_b32 s11, v11
	v_readfirstlane_b32 s10, v10
	s_mov_b32 s5, exec_lo
	s_clause 0x1
	global_load_dwordx2 v[12:13], v2, s[6:7] offset:40
	global_load_dwordx4 v[6:9], v2, s[6:7]
	s_waitcnt vmcnt(1)
	v_readfirstlane_b32 s12, v12
	v_readfirstlane_b32 s13, v13
	s_and_b64 s[12:13], s[12:13], s[10:11]
	s_mul_i32 s14, s13, 24
	s_mul_hi_u32 s15, s12, 24
	s_mul_i32 s16, s12, 24
	s_add_i32 s15, s15, s14
	s_waitcnt vmcnt(0)
	v_add_co_u32 v10, vcc_lo, v6, s16
	v_add_co_ci_u32_e64 v11, null, s15, v7, vcc_lo
	s_and_saveexec_b32 s14, s4
	s_cbranch_execz .LBB1_230
; %bb.229:
	v_mov_b32_e32 v12, s5
	v_mov_b32_e32 v13, v2
	;; [unrolled: 1-line block ×4, first 2 shown]
	global_store_dwordx4 v[10:11], v[12:15], off offset:8
.LBB1_230:
	s_or_b32 exec_lo, exec_lo, s14
	s_lshl_b64 s[12:13], s[12:13], 12
	v_and_or_b32 v0, 0xffffff1f, v0, 32
	v_add_co_u32 v8, vcc_lo, v8, s12
	v_add_co_ci_u32_e64 v9, null, s13, v9, vcc_lo
	s_mov_b32 s12, 0
	v_readfirstlane_b32 s16, v8
	v_add_co_u32 v8, vcc_lo, v8, v33
	s_mov_b32 s13, s12
	s_mov_b32 s14, s12
	;; [unrolled: 1-line block ×3, first 2 shown]
	v_mov_b32_e32 v3, v2
	v_readfirstlane_b32 s17, v9
	v_mov_b32_e32 v12, s12
	v_add_co_ci_u32_e64 v9, null, 0, v9, vcc_lo
	v_mov_b32_e32 v13, s13
	v_mov_b32_e32 v14, s14
	;; [unrolled: 1-line block ×3, first 2 shown]
	global_store_dwordx4 v33, v[0:3], s[16:17]
	global_store_dwordx4 v33, v[12:15], s[16:17] offset:16
	global_store_dwordx4 v33, v[12:15], s[16:17] offset:32
	;; [unrolled: 1-line block ×3, first 2 shown]
	s_and_saveexec_b32 s5, s4
	s_cbranch_execz .LBB1_238
; %bb.231:
	v_mov_b32_e32 v12, 0
	v_mov_b32_e32 v13, s10
	;; [unrolled: 1-line block ×3, first 2 shown]
	s_clause 0x1
	global_load_dwordx2 v[15:16], v12, s[6:7] offset:32 glc dlc
	global_load_dwordx2 v[0:1], v12, s[6:7] offset:40
	s_waitcnt vmcnt(0)
	v_readfirstlane_b32 s12, v0
	v_readfirstlane_b32 s13, v1
	s_and_b64 s[12:13], s[12:13], s[10:11]
	s_mul_i32 s13, s13, 24
	s_mul_hi_u32 s14, s12, 24
	s_mul_i32 s12, s12, 24
	s_add_i32 s14, s14, s13
	v_add_co_u32 v6, vcc_lo, v6, s12
	v_add_co_ci_u32_e64 v7, null, s14, v7, vcc_lo
	s_mov_b32 s12, exec_lo
	global_store_dwordx2 v[6:7], v[15:16], off
	s_waitcnt_vscnt null, 0x0
	global_atomic_cmpswap_x2 v[2:3], v12, v[13:16], s[6:7] offset:32 glc
	s_waitcnt vmcnt(0)
	v_cmpx_ne_u64_e64 v[2:3], v[15:16]
	s_cbranch_execz .LBB1_234
; %bb.232:
	s_mov_b32 s13, 0
.LBB1_233:                              ; =>This Inner Loop Header: Depth=1
	v_mov_b32_e32 v0, s10
	v_mov_b32_e32 v1, s11
	s_sleep 1
	global_store_dwordx2 v[6:7], v[2:3], off
	s_waitcnt_vscnt null, 0x0
	global_atomic_cmpswap_x2 v[0:1], v12, v[0:3], s[6:7] offset:32 glc
	s_waitcnt vmcnt(0)
	v_cmp_eq_u64_e32 vcc_lo, v[0:1], v[2:3]
	v_mov_b32_e32 v3, v1
	v_mov_b32_e32 v2, v0
	s_or_b32 s13, vcc_lo, s13
	s_andn2_b32 exec_lo, exec_lo, s13
	s_cbranch_execnz .LBB1_233
.LBB1_234:
	s_or_b32 exec_lo, exec_lo, s12
	v_mov_b32_e32 v3, 0
	s_mov_b32 s13, exec_lo
	s_mov_b32 s12, exec_lo
	v_mbcnt_lo_u32_b32 v2, s13, 0
	global_load_dwordx2 v[0:1], v3, s[6:7] offset:16
	v_cmpx_eq_u32_e32 0, v2
	s_cbranch_execz .LBB1_236
; %bb.235:
	s_bcnt1_i32_b32 s13, s13
	v_mov_b32_e32 v2, s13
	s_waitcnt vmcnt(0)
	global_atomic_add_x2 v[0:1], v[2:3], off offset:8
.LBB1_236:
	s_or_b32 exec_lo, exec_lo, s12
	s_waitcnt vmcnt(0)
	global_load_dwordx2 v[2:3], v[0:1], off offset:16
	s_waitcnt vmcnt(0)
	v_cmp_eq_u64_e32 vcc_lo, 0, v[2:3]
	s_cbranch_vccnz .LBB1_238
; %bb.237:
	global_load_dword v0, v[0:1], off offset:24
	v_mov_b32_e32 v1, 0
	s_waitcnt vmcnt(0)
	v_readfirstlane_b32 s12, v0
	s_waitcnt_vscnt null, 0x0
	global_store_dwordx2 v[2:3], v[0:1], off
	s_and_b32 m0, s12, 0x7fffff
	s_sendmsg sendmsg(MSG_INTERRUPT)
.LBB1_238:
	s_or_b32 exec_lo, exec_lo, s5
	s_branch .LBB1_242
	.p2align	6
.LBB1_239:                              ;   in Loop: Header=BB1_242 Depth=1
	s_or_b32 exec_lo, exec_lo, s5
	v_readfirstlane_b32 s5, v0
	s_cmp_eq_u32 s5, 0
	s_cbranch_scc1 .LBB1_241
; %bb.240:                              ;   in Loop: Header=BB1_242 Depth=1
	s_sleep 1
	s_cbranch_execnz .LBB1_242
	s_branch .LBB1_244
	.p2align	6
.LBB1_241:
	s_branch .LBB1_244
.LBB1_242:                              ; =>This Inner Loop Header: Depth=1
	v_mov_b32_e32 v0, 1
	s_and_saveexec_b32 s5, s4
	s_cbranch_execz .LBB1_239
; %bb.243:                              ;   in Loop: Header=BB1_242 Depth=1
	global_load_dword v0, v[10:11], off offset:20 glc dlc
	s_waitcnt vmcnt(0)
	buffer_gl1_inv
	buffer_gl0_inv
	v_and_b32_e32 v0, 1, v0
	s_branch .LBB1_239
.LBB1_244:
	global_load_dwordx2 v[6:7], v[8:9], off
	s_and_saveexec_b32 s12, s4
	s_cbranch_execz .LBB1_248
; %bb.245:
	v_mov_b32_e32 v10, 0
	s_clause 0x2
	global_load_dwordx2 v[0:1], v10, s[6:7] offset:40
	global_load_dwordx2 v[13:14], v10, s[6:7] offset:24 glc dlc
	global_load_dwordx2 v[2:3], v10, s[6:7]
	s_waitcnt vmcnt(2)
	v_readfirstlane_b32 s14, v0
	v_readfirstlane_b32 s15, v1
	s_add_u32 s13, s14, 1
	s_addc_u32 s16, s15, 0
	s_add_u32 s4, s13, s10
	s_addc_u32 s5, s16, s11
	s_cmp_eq_u64 s[4:5], 0
	s_cselect_b32 s5, s16, s5
	s_cselect_b32 s4, s13, s4
	v_mov_b32_e32 v12, s5
	s_and_b64 s[10:11], s[4:5], s[14:15]
	v_mov_b32_e32 v11, s4
	s_mul_i32 s11, s11, 24
	s_mul_hi_u32 s13, s10, 24
	s_mul_i32 s10, s10, 24
	s_add_i32 s13, s13, s11
	s_waitcnt vmcnt(0)
	v_add_co_u32 v8, vcc_lo, v2, s10
	v_add_co_ci_u32_e64 v9, null, s13, v3, vcc_lo
	global_store_dwordx2 v[8:9], v[13:14], off
	s_waitcnt_vscnt null, 0x0
	global_atomic_cmpswap_x2 v[2:3], v10, v[11:14], s[6:7] offset:24 glc
	s_waitcnt vmcnt(0)
	v_cmp_ne_u64_e32 vcc_lo, v[2:3], v[13:14]
	s_and_b32 exec_lo, exec_lo, vcc_lo
	s_cbranch_execz .LBB1_248
; %bb.246:
	s_mov_b32 s10, 0
.LBB1_247:                              ; =>This Inner Loop Header: Depth=1
	v_mov_b32_e32 v0, s4
	v_mov_b32_e32 v1, s5
	s_sleep 1
	global_store_dwordx2 v[8:9], v[2:3], off
	s_waitcnt_vscnt null, 0x0
	global_atomic_cmpswap_x2 v[0:1], v10, v[0:3], s[6:7] offset:24 glc
	s_waitcnt vmcnt(0)
	v_cmp_eq_u64_e32 vcc_lo, v[0:1], v[2:3]
	v_mov_b32_e32 v3, v1
	v_mov_b32_e32 v2, v0
	s_or_b32 s10, vcc_lo, s10
	s_andn2_b32 exec_lo, exec_lo, s10
	s_cbranch_execnz .LBB1_247
.LBB1_248:
	s_or_b32 exec_lo, exec_lo, s12
.LBB1_249:
	v_readfirstlane_b32 s4, v32
	v_mov_b32_e32 v10, 0
	v_mov_b32_e32 v11, 0
	v_cmp_eq_u32_e64 s4, s4, v32
	s_and_saveexec_b32 s5, s4
	s_cbranch_execz .LBB1_255
; %bb.250:
	s_waitcnt vmcnt(0)
	v_mov_b32_e32 v0, 0
	s_mov_b32 s10, exec_lo
	global_load_dwordx2 v[12:13], v0, s[6:7] offset:24 glc dlc
	s_waitcnt vmcnt(0)
	buffer_gl1_inv
	buffer_gl0_inv
	s_clause 0x1
	global_load_dwordx2 v[1:2], v0, s[6:7] offset:40
	global_load_dwordx2 v[8:9], v0, s[6:7]
	s_waitcnt vmcnt(1)
	v_and_b32_e32 v2, v2, v13
	v_and_b32_e32 v1, v1, v12
	v_mul_lo_u32 v2, v2, 24
	v_mul_hi_u32 v3, v1, 24
	v_mul_lo_u32 v1, v1, 24
	v_add_nc_u32_e32 v2, v3, v2
	s_waitcnt vmcnt(0)
	v_add_co_u32 v1, vcc_lo, v8, v1
	v_add_co_ci_u32_e64 v2, null, v9, v2, vcc_lo
	global_load_dwordx2 v[10:11], v[1:2], off glc dlc
	s_waitcnt vmcnt(0)
	global_atomic_cmpswap_x2 v[10:11], v0, v[10:13], s[6:7] offset:24 glc
	s_waitcnt vmcnt(0)
	buffer_gl1_inv
	buffer_gl0_inv
	v_cmpx_ne_u64_e64 v[10:11], v[12:13]
	s_cbranch_execz .LBB1_254
; %bb.251:
	s_mov_b32 s11, 0
	.p2align	6
.LBB1_252:                              ; =>This Inner Loop Header: Depth=1
	s_sleep 1
	s_clause 0x1
	global_load_dwordx2 v[1:2], v0, s[6:7] offset:40
	global_load_dwordx2 v[8:9], v0, s[6:7]
	v_mov_b32_e32 v13, v11
	v_mov_b32_e32 v12, v10
	s_waitcnt vmcnt(1)
	v_and_b32_e32 v1, v1, v12
	v_and_b32_e32 v2, v2, v13
	s_waitcnt vmcnt(0)
	v_mad_u64_u32 v[8:9], null, v1, 24, v[8:9]
	v_mov_b32_e32 v1, v9
	v_mad_u64_u32 v[1:2], null, v2, 24, v[1:2]
	v_mov_b32_e32 v9, v1
	global_load_dwordx2 v[10:11], v[8:9], off glc dlc
	s_waitcnt vmcnt(0)
	global_atomic_cmpswap_x2 v[10:11], v0, v[10:13], s[6:7] offset:24 glc
	s_waitcnt vmcnt(0)
	buffer_gl1_inv
	buffer_gl0_inv
	v_cmp_eq_u64_e32 vcc_lo, v[10:11], v[12:13]
	s_or_b32 s11, vcc_lo, s11
	s_andn2_b32 exec_lo, exec_lo, s11
	s_cbranch_execnz .LBB1_252
; %bb.253:
	s_or_b32 exec_lo, exec_lo, s11
.LBB1_254:
	s_or_b32 exec_lo, exec_lo, s10
.LBB1_255:
	s_or_b32 exec_lo, exec_lo, s5
	v_mov_b32_e32 v9, 0
	v_readfirstlane_b32 s11, v11
	v_readfirstlane_b32 s10, v10
	s_mov_b32 s5, exec_lo
	s_clause 0x1
	global_load_dwordx2 v[12:13], v9, s[6:7] offset:40
	global_load_dwordx4 v[0:3], v9, s[6:7]
	s_waitcnt vmcnt(1)
	v_readfirstlane_b32 s12, v12
	v_readfirstlane_b32 s13, v13
	s_and_b64 s[12:13], s[12:13], s[10:11]
	s_mul_i32 s14, s13, 24
	s_mul_hi_u32 s15, s12, 24
	s_mul_i32 s16, s12, 24
	s_add_i32 s15, s15, s14
	s_waitcnt vmcnt(0)
	v_add_co_u32 v10, vcc_lo, v0, s16
	v_add_co_ci_u32_e64 v11, null, s15, v1, vcc_lo
	s_and_saveexec_b32 s14, s4
	s_cbranch_execz .LBB1_257
; %bb.256:
	v_mov_b32_e32 v8, s5
	v_mov_b32_e32 v13, v9
	;; [unrolled: 1-line block ×5, first 2 shown]
	global_store_dwordx4 v[10:11], v[12:15], off offset:8
.LBB1_257:
	s_or_b32 exec_lo, exec_lo, s14
	s_lshl_b64 s[12:13], s[12:13], 12
	v_and_or_b32 v6, 0xffffff1f, v6, 32
	v_add_co_u32 v2, vcc_lo, v2, s12
	v_add_co_ci_u32_e64 v3, null, s13, v3, vcc_lo
	s_mov_b32 s12, 0
	v_add_co_u32 v12, vcc_lo, v2, v33
	s_mov_b32 s15, s12
	s_mov_b32 s13, s12
	;; [unrolled: 1-line block ×3, first 2 shown]
	v_mov_b32_e32 v8, 0x331
	v_readfirstlane_b32 s16, v2
	v_readfirstlane_b32 s17, v3
	v_mov_b32_e32 v17, s15
	v_add_co_ci_u32_e64 v13, null, 0, v3, vcc_lo
	v_mov_b32_e32 v16, s14
	v_mov_b32_e32 v15, s13
	;; [unrolled: 1-line block ×3, first 2 shown]
	global_store_dwordx4 v33, v[6:9], s[16:17]
	global_store_dwordx4 v33, v[14:17], s[16:17] offset:16
	global_store_dwordx4 v33, v[14:17], s[16:17] offset:32
	;; [unrolled: 1-line block ×3, first 2 shown]
	s_and_saveexec_b32 s5, s4
	s_cbranch_execz .LBB1_265
; %bb.258:
	v_mov_b32_e32 v8, 0
	v_mov_b32_e32 v14, s10
	;; [unrolled: 1-line block ×3, first 2 shown]
	s_clause 0x1
	global_load_dwordx2 v[16:17], v8, s[6:7] offset:32 glc dlc
	global_load_dwordx2 v[2:3], v8, s[6:7] offset:40
	s_waitcnt vmcnt(0)
	v_readfirstlane_b32 s12, v2
	v_readfirstlane_b32 s13, v3
	s_and_b64 s[12:13], s[12:13], s[10:11]
	s_mul_i32 s13, s13, 24
	s_mul_hi_u32 s14, s12, 24
	s_mul_i32 s12, s12, 24
	s_add_i32 s14, s14, s13
	v_add_co_u32 v6, vcc_lo, v0, s12
	v_add_co_ci_u32_e64 v7, null, s14, v1, vcc_lo
	s_mov_b32 s12, exec_lo
	global_store_dwordx2 v[6:7], v[16:17], off
	s_waitcnt_vscnt null, 0x0
	global_atomic_cmpswap_x2 v[2:3], v8, v[14:17], s[6:7] offset:32 glc
	s_waitcnt vmcnt(0)
	v_cmpx_ne_u64_e64 v[2:3], v[16:17]
	s_cbranch_execz .LBB1_261
; %bb.259:
	s_mov_b32 s13, 0
.LBB1_260:                              ; =>This Inner Loop Header: Depth=1
	v_mov_b32_e32 v0, s10
	v_mov_b32_e32 v1, s11
	s_sleep 1
	global_store_dwordx2 v[6:7], v[2:3], off
	s_waitcnt_vscnt null, 0x0
	global_atomic_cmpswap_x2 v[0:1], v8, v[0:3], s[6:7] offset:32 glc
	s_waitcnt vmcnt(0)
	v_cmp_eq_u64_e32 vcc_lo, v[0:1], v[2:3]
	v_mov_b32_e32 v3, v1
	v_mov_b32_e32 v2, v0
	s_or_b32 s13, vcc_lo, s13
	s_andn2_b32 exec_lo, exec_lo, s13
	s_cbranch_execnz .LBB1_260
.LBB1_261:
	s_or_b32 exec_lo, exec_lo, s12
	v_mov_b32_e32 v3, 0
	s_mov_b32 s13, exec_lo
	s_mov_b32 s12, exec_lo
	v_mbcnt_lo_u32_b32 v2, s13, 0
	global_load_dwordx2 v[0:1], v3, s[6:7] offset:16
	v_cmpx_eq_u32_e32 0, v2
	s_cbranch_execz .LBB1_263
; %bb.262:
	s_bcnt1_i32_b32 s13, s13
	v_mov_b32_e32 v2, s13
	s_waitcnt vmcnt(0)
	global_atomic_add_x2 v[0:1], v[2:3], off offset:8
.LBB1_263:
	s_or_b32 exec_lo, exec_lo, s12
	s_waitcnt vmcnt(0)
	global_load_dwordx2 v[2:3], v[0:1], off offset:16
	s_waitcnt vmcnt(0)
	v_cmp_eq_u64_e32 vcc_lo, 0, v[2:3]
	s_cbranch_vccnz .LBB1_265
; %bb.264:
	global_load_dword v0, v[0:1], off offset:24
	v_mov_b32_e32 v1, 0
	s_waitcnt vmcnt(0)
	v_readfirstlane_b32 s12, v0
	s_waitcnt_vscnt null, 0x0
	global_store_dwordx2 v[2:3], v[0:1], off
	s_and_b32 m0, s12, 0x7fffff
	s_sendmsg sendmsg(MSG_INTERRUPT)
.LBB1_265:
	s_or_b32 exec_lo, exec_lo, s5
	s_branch .LBB1_269
	.p2align	6
.LBB1_266:                              ;   in Loop: Header=BB1_269 Depth=1
	s_or_b32 exec_lo, exec_lo, s5
	v_readfirstlane_b32 s5, v0
	s_cmp_eq_u32 s5, 0
	s_cbranch_scc1 .LBB1_268
; %bb.267:                              ;   in Loop: Header=BB1_269 Depth=1
	s_sleep 1
	s_cbranch_execnz .LBB1_269
	s_branch .LBB1_271
	.p2align	6
.LBB1_268:
	s_branch .LBB1_271
.LBB1_269:                              ; =>This Inner Loop Header: Depth=1
	v_mov_b32_e32 v0, 1
	s_and_saveexec_b32 s5, s4
	s_cbranch_execz .LBB1_266
; %bb.270:                              ;   in Loop: Header=BB1_269 Depth=1
	global_load_dword v0, v[10:11], off offset:20 glc dlc
	s_waitcnt vmcnt(0)
	buffer_gl1_inv
	buffer_gl0_inv
	v_and_b32_e32 v0, 1, v0
	s_branch .LBB1_266
.LBB1_271:
	global_load_dwordx2 v[0:1], v[12:13], off
	s_and_saveexec_b32 s12, s4
	s_cbranch_execz .LBB1_275
; %bb.272:
	v_mov_b32_e32 v10, 0
	s_clause 0x2
	global_load_dwordx2 v[2:3], v10, s[6:7] offset:40
	global_load_dwordx2 v[13:14], v10, s[6:7] offset:24 glc dlc
	global_load_dwordx2 v[6:7], v10, s[6:7]
	s_waitcnt vmcnt(2)
	v_readfirstlane_b32 s14, v2
	v_readfirstlane_b32 s15, v3
	s_add_u32 s13, s14, 1
	s_addc_u32 s16, s15, 0
	s_add_u32 s4, s13, s10
	s_addc_u32 s5, s16, s11
	s_cmp_eq_u64 s[4:5], 0
	s_cselect_b32 s5, s16, s5
	s_cselect_b32 s4, s13, s4
	v_mov_b32_e32 v12, s5
	s_and_b64 s[10:11], s[4:5], s[14:15]
	v_mov_b32_e32 v11, s4
	s_mul_i32 s11, s11, 24
	s_mul_hi_u32 s13, s10, 24
	s_mul_i32 s10, s10, 24
	s_add_i32 s13, s13, s11
	s_waitcnt vmcnt(0)
	v_add_co_u32 v2, vcc_lo, v6, s10
	v_add_co_ci_u32_e64 v3, null, s13, v7, vcc_lo
	global_store_dwordx2 v[2:3], v[13:14], off
	s_waitcnt_vscnt null, 0x0
	global_atomic_cmpswap_x2 v[8:9], v10, v[11:14], s[6:7] offset:24 glc
	s_waitcnt vmcnt(0)
	v_cmp_ne_u64_e32 vcc_lo, v[8:9], v[13:14]
	s_and_b32 exec_lo, exec_lo, vcc_lo
	s_cbranch_execz .LBB1_275
; %bb.273:
	s_mov_b32 s10, 0
.LBB1_274:                              ; =>This Inner Loop Header: Depth=1
	v_mov_b32_e32 v6, s4
	v_mov_b32_e32 v7, s5
	s_sleep 1
	global_store_dwordx2 v[2:3], v[8:9], off
	s_waitcnt_vscnt null, 0x0
	global_atomic_cmpswap_x2 v[6:7], v10, v[6:9], s[6:7] offset:24 glc
	s_waitcnt vmcnt(0)
	v_cmp_eq_u64_e32 vcc_lo, v[6:7], v[8:9]
	v_mov_b32_e32 v9, v7
	v_mov_b32_e32 v8, v6
	s_or_b32 s10, vcc_lo, s10
	s_andn2_b32 exec_lo, exec_lo, s10
	s_cbranch_execnz .LBB1_274
.LBB1_275:
	s_or_b32 exec_lo, exec_lo, s12
	v_mov_b32_e32 v7, v5
	v_mov_b32_e32 v6, v4
	s_mov_b32 s4, 0
.LBB1_276:                              ; =>This Inner Loop Header: Depth=1
	global_load_ubyte v8, v[6:7], off
	v_add_co_u32 v2, vcc_lo, v6, 1
	v_add_co_ci_u32_e64 v3, null, 0, v7, vcc_lo
	v_mov_b32_e32 v7, v3
	v_mov_b32_e32 v6, v2
	s_waitcnt vmcnt(0)
	v_cmp_eq_u16_e32 vcc_lo, 0, v8
	s_or_b32 s4, vcc_lo, s4
	s_andn2_b32 exec_lo, exec_lo, s4
	s_cbranch_execnz .LBB1_276
; %bb.277:
	s_or_b32 exec_lo, exec_lo, s4
	s_mov_b32 s4, exec_lo
	v_cmpx_ne_u64_e32 0, v[4:5]
	s_xor_b32 s14, exec_lo, s4
	s_cbranch_execz .LBB1_363
; %bb.278:
	v_sub_nc_u32_e32 v26, v2, v4
	v_and_b32_e32 v34, 2, v0
	v_mov_b32_e32 v7, 0
	v_and_b32_e32 v0, -3, v0
	v_mov_b32_e32 v8, 2
	v_ashrrev_i32_e32 v27, 31, v26
	v_mov_b32_e32 v9, 1
	s_mov_b32 s16, 0
	s_mov_b32 s15, 0
	s_branch .LBB1_280
.LBB1_279:                              ;   in Loop: Header=BB1_280 Depth=1
	s_or_b32 exec_lo, exec_lo, s12
	v_sub_co_u32 v26, vcc_lo, v26, v28
	v_sub_co_ci_u32_e64 v27, null, v27, v29, vcc_lo
	v_add_co_u32 v4, s4, v4, v28
	v_add_co_ci_u32_e64 v5, null, v5, v29, s4
	v_cmp_eq_u64_e32 vcc_lo, 0, v[26:27]
	s_or_b32 s15, vcc_lo, s15
	s_andn2_b32 exec_lo, exec_lo, s15
	s_cbranch_execz .LBB1_362
.LBB1_280:                              ; =>This Loop Header: Depth=1
                                        ;     Child Loop BB1_283 Depth 2
                                        ;     Child Loop BB1_291 Depth 2
	;; [unrolled: 1-line block ×11, first 2 shown]
	v_cmp_gt_u64_e32 vcc_lo, 56, v[26:27]
	s_mov_b32 s5, exec_lo
	v_cndmask_b32_e32 v29, 0, v27, vcc_lo
	v_cndmask_b32_e32 v28, 56, v26, vcc_lo
	v_add_co_u32 v12, vcc_lo, v4, 8
	v_add_co_ci_u32_e64 v13, null, 0, v5, vcc_lo
	v_cmpx_gt_u64_e32 8, v[26:27]
	s_xor_b32 s5, exec_lo, s5
	s_cbranch_execz .LBB1_286
; %bb.281:                              ;   in Loop: Header=BB1_280 Depth=1
	v_mov_b32_e32 v2, 0
	v_mov_b32_e32 v3, 0
	s_mov_b32 s12, exec_lo
	v_cmpx_ne_u64_e32 0, v[26:27]
	s_cbranch_execz .LBB1_285
; %bb.282:                              ;   in Loop: Header=BB1_280 Depth=1
	v_lshlrev_b64 v[10:11], 3, v[28:29]
	v_mov_b32_e32 v2, 0
	v_mov_b32_e32 v12, v5
	;; [unrolled: 1-line block ×4, first 2 shown]
	s_mov_b64 s[10:11], 0
	s_mov_b32 s13, 0
	.p2align	6
.LBB1_283:                              ;   Parent Loop BB1_280 Depth=1
                                        ; =>  This Inner Loop Header: Depth=2
	global_load_ubyte v6, v[11:12], off
	v_mov_b32_e32 v14, s16
	v_add_co_u32 v11, vcc_lo, v11, 1
	v_add_co_ci_u32_e64 v12, null, 0, v12, vcc_lo
	s_waitcnt vmcnt(0)
	v_and_b32_e32 v13, 0xffff, v6
	v_lshlrev_b64 v[13:14], s10, v[13:14]
	s_add_u32 s10, s10, 8
	s_addc_u32 s11, s11, 0
	v_cmp_eq_u32_e64 s4, s10, v10
	v_or_b32_e32 v3, v14, v3
	v_or_b32_e32 v2, v13, v2
	s_or_b32 s13, s4, s13
	s_andn2_b32 exec_lo, exec_lo, s13
	s_cbranch_execnz .LBB1_283
; %bb.284:                              ;   in Loop: Header=BB1_280 Depth=1
	s_or_b32 exec_lo, exec_lo, s13
.LBB1_285:                              ;   in Loop: Header=BB1_280 Depth=1
	s_or_b32 exec_lo, exec_lo, s12
	v_mov_b32_e32 v13, v5
	v_mov_b32_e32 v12, v4
.LBB1_286:                              ;   in Loop: Header=BB1_280 Depth=1
	s_or_saveexec_b32 s4, s5
	v_mov_b32_e32 v6, 0
	s_xor_b32 exec_lo, exec_lo, s4
	s_cbranch_execz .LBB1_288
; %bb.287:                              ;   in Loop: Header=BB1_280 Depth=1
	global_load_dwordx2 v[2:3], v[4:5], off
	v_add_nc_u32_e32 v6, -8, v28
.LBB1_288:                              ;   in Loop: Header=BB1_280 Depth=1
	s_or_b32 exec_lo, exec_lo, s4
	v_add_co_u32 v14, s4, v12, 8
	v_add_co_ci_u32_e64 v15, null, 0, v13, s4
                                        ; implicit-def: $vgpr10_vgpr11
	s_mov_b32 s4, exec_lo
	v_cmpx_gt_u32_e32 8, v6
	s_xor_b32 s12, exec_lo, s4
	s_cbranch_execz .LBB1_294
; %bb.289:                              ;   in Loop: Header=BB1_280 Depth=1
	v_mov_b32_e32 v10, 0
	v_mov_b32_e32 v11, 0
	s_mov_b32 s13, exec_lo
	v_cmpx_ne_u32_e32 0, v6
	s_cbranch_execz .LBB1_293
; %bb.290:                              ;   in Loop: Header=BB1_280 Depth=1
	v_mov_b32_e32 v10, 0
	v_mov_b32_e32 v11, 0
	s_mov_b64 s[4:5], 0
	s_mov_b32 s17, 0
	s_mov_b64 s[10:11], 0
	.p2align	6
.LBB1_291:                              ;   Parent Loop BB1_280 Depth=1
                                        ; =>  This Inner Loop Header: Depth=2
	v_add_co_u32 v14, vcc_lo, v12, s10
	v_add_co_ci_u32_e64 v15, null, s11, v13, vcc_lo
	s_add_u32 s10, s10, 1
	s_addc_u32 s11, s11, 0
	v_cmp_eq_u32_e32 vcc_lo, s10, v6
	global_load_ubyte v14, v[14:15], off
	v_mov_b32_e32 v15, s16
	s_waitcnt vmcnt(0)
	v_and_b32_e32 v14, 0xffff, v14
	v_lshlrev_b64 v[14:15], s4, v[14:15]
	s_add_u32 s4, s4, 8
	s_addc_u32 s5, s5, 0
	s_or_b32 s17, vcc_lo, s17
	v_or_b32_e32 v11, v15, v11
	v_or_b32_e32 v10, v14, v10
	s_andn2_b32 exec_lo, exec_lo, s17
	s_cbranch_execnz .LBB1_291
; %bb.292:                              ;   in Loop: Header=BB1_280 Depth=1
	s_or_b32 exec_lo, exec_lo, s17
.LBB1_293:                              ;   in Loop: Header=BB1_280 Depth=1
	s_or_b32 exec_lo, exec_lo, s13
	v_mov_b32_e32 v15, v13
	v_mov_b32_e32 v14, v12
                                        ; implicit-def: $vgpr6
.LBB1_294:                              ;   in Loop: Header=BB1_280 Depth=1
	s_or_saveexec_b32 s4, s12
	v_mov_b32_e32 v18, 0
	s_xor_b32 exec_lo, exec_lo, s4
	s_cbranch_execz .LBB1_296
; %bb.295:                              ;   in Loop: Header=BB1_280 Depth=1
	global_load_dwordx2 v[10:11], v[12:13], off
	v_add_nc_u32_e32 v18, -8, v6
.LBB1_296:                              ;   in Loop: Header=BB1_280 Depth=1
	s_or_b32 exec_lo, exec_lo, s4
	v_add_co_u32 v16, s4, v14, 8
	v_add_co_ci_u32_e64 v17, null, 0, v15, s4
	s_mov_b32 s4, exec_lo
	v_cmpx_gt_u32_e32 8, v18
	s_xor_b32 s12, exec_lo, s4
	s_cbranch_execz .LBB1_302
; %bb.297:                              ;   in Loop: Header=BB1_280 Depth=1
	v_mov_b32_e32 v12, 0
	v_mov_b32_e32 v13, 0
	s_mov_b32 s13, exec_lo
	v_cmpx_ne_u32_e32 0, v18
	s_cbranch_execz .LBB1_301
; %bb.298:                              ;   in Loop: Header=BB1_280 Depth=1
	v_mov_b32_e32 v12, 0
	v_mov_b32_e32 v13, 0
	s_mov_b64 s[4:5], 0
	s_mov_b32 s17, 0
	s_mov_b64 s[10:11], 0
	.p2align	6
.LBB1_299:                              ;   Parent Loop BB1_280 Depth=1
                                        ; =>  This Inner Loop Header: Depth=2
	v_add_co_u32 v16, vcc_lo, v14, s10
	v_add_co_ci_u32_e64 v17, null, s11, v15, vcc_lo
	s_add_u32 s10, s10, 1
	s_addc_u32 s11, s11, 0
	v_cmp_eq_u32_e32 vcc_lo, s10, v18
	global_load_ubyte v6, v[16:17], off
	v_mov_b32_e32 v17, s16
	s_waitcnt vmcnt(0)
	v_and_b32_e32 v16, 0xffff, v6
	v_lshlrev_b64 v[16:17], s4, v[16:17]
	s_add_u32 s4, s4, 8
	s_addc_u32 s5, s5, 0
	s_or_b32 s17, vcc_lo, s17
	v_or_b32_e32 v13, v17, v13
	v_or_b32_e32 v12, v16, v12
	s_andn2_b32 exec_lo, exec_lo, s17
	s_cbranch_execnz .LBB1_299
; %bb.300:                              ;   in Loop: Header=BB1_280 Depth=1
	s_or_b32 exec_lo, exec_lo, s17
.LBB1_301:                              ;   in Loop: Header=BB1_280 Depth=1
	s_or_b32 exec_lo, exec_lo, s13
	v_mov_b32_e32 v17, v15
	v_mov_b32_e32 v16, v14
                                        ; implicit-def: $vgpr18
.LBB1_302:                              ;   in Loop: Header=BB1_280 Depth=1
	s_or_saveexec_b32 s4, s12
	v_mov_b32_e32 v6, 0
	s_xor_b32 exec_lo, exec_lo, s4
	s_cbranch_execz .LBB1_304
; %bb.303:                              ;   in Loop: Header=BB1_280 Depth=1
	global_load_dwordx2 v[12:13], v[14:15], off
	v_add_nc_u32_e32 v6, -8, v18
.LBB1_304:                              ;   in Loop: Header=BB1_280 Depth=1
	s_or_b32 exec_lo, exec_lo, s4
	v_add_co_u32 v18, s4, v16, 8
	v_add_co_ci_u32_e64 v19, null, 0, v17, s4
                                        ; implicit-def: $vgpr14_vgpr15
	s_mov_b32 s4, exec_lo
	v_cmpx_gt_u32_e32 8, v6
	s_xor_b32 s12, exec_lo, s4
	s_cbranch_execz .LBB1_310
; %bb.305:                              ;   in Loop: Header=BB1_280 Depth=1
	v_mov_b32_e32 v14, 0
	v_mov_b32_e32 v15, 0
	s_mov_b32 s13, exec_lo
	v_cmpx_ne_u32_e32 0, v6
	s_cbranch_execz .LBB1_309
; %bb.306:                              ;   in Loop: Header=BB1_280 Depth=1
	v_mov_b32_e32 v14, 0
	v_mov_b32_e32 v15, 0
	s_mov_b64 s[4:5], 0
	s_mov_b32 s17, 0
	s_mov_b64 s[10:11], 0
	.p2align	6
.LBB1_307:                              ;   Parent Loop BB1_280 Depth=1
                                        ; =>  This Inner Loop Header: Depth=2
	v_add_co_u32 v18, vcc_lo, v16, s10
	v_add_co_ci_u32_e64 v19, null, s11, v17, vcc_lo
	s_add_u32 s10, s10, 1
	s_addc_u32 s11, s11, 0
	v_cmp_eq_u32_e32 vcc_lo, s10, v6
	global_load_ubyte v18, v[18:19], off
	v_mov_b32_e32 v19, s16
	s_waitcnt vmcnt(0)
	v_and_b32_e32 v18, 0xffff, v18
	v_lshlrev_b64 v[18:19], s4, v[18:19]
	s_add_u32 s4, s4, 8
	s_addc_u32 s5, s5, 0
	s_or_b32 s17, vcc_lo, s17
	v_or_b32_e32 v15, v19, v15
	v_or_b32_e32 v14, v18, v14
	s_andn2_b32 exec_lo, exec_lo, s17
	s_cbranch_execnz .LBB1_307
; %bb.308:                              ;   in Loop: Header=BB1_280 Depth=1
	s_or_b32 exec_lo, exec_lo, s17
.LBB1_309:                              ;   in Loop: Header=BB1_280 Depth=1
	s_or_b32 exec_lo, exec_lo, s13
	v_mov_b32_e32 v19, v17
	v_mov_b32_e32 v18, v16
                                        ; implicit-def: $vgpr6
.LBB1_310:                              ;   in Loop: Header=BB1_280 Depth=1
	s_or_saveexec_b32 s4, s12
	v_mov_b32_e32 v22, 0
	s_xor_b32 exec_lo, exec_lo, s4
	s_cbranch_execz .LBB1_312
; %bb.311:                              ;   in Loop: Header=BB1_280 Depth=1
	global_load_dwordx2 v[14:15], v[16:17], off
	v_add_nc_u32_e32 v22, -8, v6
.LBB1_312:                              ;   in Loop: Header=BB1_280 Depth=1
	s_or_b32 exec_lo, exec_lo, s4
	v_add_co_u32 v20, s4, v18, 8
	v_add_co_ci_u32_e64 v21, null, 0, v19, s4
	s_mov_b32 s4, exec_lo
	v_cmpx_gt_u32_e32 8, v22
	s_xor_b32 s12, exec_lo, s4
	s_cbranch_execz .LBB1_318
; %bb.313:                              ;   in Loop: Header=BB1_280 Depth=1
	v_mov_b32_e32 v16, 0
	v_mov_b32_e32 v17, 0
	s_mov_b32 s13, exec_lo
	v_cmpx_ne_u32_e32 0, v22
	s_cbranch_execz .LBB1_317
; %bb.314:                              ;   in Loop: Header=BB1_280 Depth=1
	v_mov_b32_e32 v16, 0
	v_mov_b32_e32 v17, 0
	s_mov_b64 s[4:5], 0
	s_mov_b32 s17, 0
	s_mov_b64 s[10:11], 0
	.p2align	6
.LBB1_315:                              ;   Parent Loop BB1_280 Depth=1
                                        ; =>  This Inner Loop Header: Depth=2
	v_add_co_u32 v20, vcc_lo, v18, s10
	v_add_co_ci_u32_e64 v21, null, s11, v19, vcc_lo
	s_add_u32 s10, s10, 1
	s_addc_u32 s11, s11, 0
	v_cmp_eq_u32_e32 vcc_lo, s10, v22
	global_load_ubyte v6, v[20:21], off
	v_mov_b32_e32 v21, s16
	s_waitcnt vmcnt(0)
	v_and_b32_e32 v20, 0xffff, v6
	v_lshlrev_b64 v[20:21], s4, v[20:21]
	s_add_u32 s4, s4, 8
	s_addc_u32 s5, s5, 0
	s_or_b32 s17, vcc_lo, s17
	v_or_b32_e32 v17, v21, v17
	v_or_b32_e32 v16, v20, v16
	s_andn2_b32 exec_lo, exec_lo, s17
	s_cbranch_execnz .LBB1_315
; %bb.316:                              ;   in Loop: Header=BB1_280 Depth=1
	s_or_b32 exec_lo, exec_lo, s17
.LBB1_317:                              ;   in Loop: Header=BB1_280 Depth=1
	s_or_b32 exec_lo, exec_lo, s13
	v_mov_b32_e32 v21, v19
	v_mov_b32_e32 v20, v18
                                        ; implicit-def: $vgpr22
.LBB1_318:                              ;   in Loop: Header=BB1_280 Depth=1
	s_or_saveexec_b32 s4, s12
	v_mov_b32_e32 v6, 0
	s_xor_b32 exec_lo, exec_lo, s4
	s_cbranch_execz .LBB1_320
; %bb.319:                              ;   in Loop: Header=BB1_280 Depth=1
	global_load_dwordx2 v[16:17], v[18:19], off
	v_add_nc_u32_e32 v6, -8, v22
.LBB1_320:                              ;   in Loop: Header=BB1_280 Depth=1
	s_or_b32 exec_lo, exec_lo, s4
	v_add_co_u32 v22, s4, v20, 8
	v_add_co_ci_u32_e64 v23, null, 0, v21, s4
                                        ; implicit-def: $vgpr18_vgpr19
	s_mov_b32 s4, exec_lo
	v_cmpx_gt_u32_e32 8, v6
	s_xor_b32 s12, exec_lo, s4
	s_cbranch_execz .LBB1_326
; %bb.321:                              ;   in Loop: Header=BB1_280 Depth=1
	v_mov_b32_e32 v18, 0
	v_mov_b32_e32 v19, 0
	s_mov_b32 s13, exec_lo
	v_cmpx_ne_u32_e32 0, v6
	s_cbranch_execz .LBB1_325
; %bb.322:                              ;   in Loop: Header=BB1_280 Depth=1
	v_mov_b32_e32 v18, 0
	v_mov_b32_e32 v19, 0
	s_mov_b64 s[4:5], 0
	s_mov_b32 s17, 0
	s_mov_b64 s[10:11], 0
	.p2align	6
.LBB1_323:                              ;   Parent Loop BB1_280 Depth=1
                                        ; =>  This Inner Loop Header: Depth=2
	v_add_co_u32 v22, vcc_lo, v20, s10
	v_add_co_ci_u32_e64 v23, null, s11, v21, vcc_lo
	s_add_u32 s10, s10, 1
	s_addc_u32 s11, s11, 0
	v_cmp_eq_u32_e32 vcc_lo, s10, v6
	global_load_ubyte v22, v[22:23], off
	v_mov_b32_e32 v23, s16
	s_waitcnt vmcnt(0)
	v_and_b32_e32 v22, 0xffff, v22
	v_lshlrev_b64 v[22:23], s4, v[22:23]
	s_add_u32 s4, s4, 8
	s_addc_u32 s5, s5, 0
	s_or_b32 s17, vcc_lo, s17
	v_or_b32_e32 v19, v23, v19
	v_or_b32_e32 v18, v22, v18
	s_andn2_b32 exec_lo, exec_lo, s17
	s_cbranch_execnz .LBB1_323
; %bb.324:                              ;   in Loop: Header=BB1_280 Depth=1
	s_or_b32 exec_lo, exec_lo, s17
.LBB1_325:                              ;   in Loop: Header=BB1_280 Depth=1
	s_or_b32 exec_lo, exec_lo, s13
	v_mov_b32_e32 v23, v21
	v_mov_b32_e32 v22, v20
                                        ; implicit-def: $vgpr6
.LBB1_326:                              ;   in Loop: Header=BB1_280 Depth=1
	s_or_saveexec_b32 s4, s12
	v_mov_b32_e32 v24, 0
	s_xor_b32 exec_lo, exec_lo, s4
	s_cbranch_execz .LBB1_328
; %bb.327:                              ;   in Loop: Header=BB1_280 Depth=1
	global_load_dwordx2 v[18:19], v[20:21], off
	v_add_nc_u32_e32 v24, -8, v6
.LBB1_328:                              ;   in Loop: Header=BB1_280 Depth=1
	s_or_b32 exec_lo, exec_lo, s4
	s_mov_b32 s4, exec_lo
	v_cmpx_gt_u32_e32 8, v24
	s_xor_b32 s10, exec_lo, s4
	s_cbranch_execz .LBB1_334
; %bb.329:                              ;   in Loop: Header=BB1_280 Depth=1
	v_mov_b32_e32 v20, 0
	v_mov_b32_e32 v21, 0
	s_mov_b32 s11, exec_lo
	v_cmpx_ne_u32_e32 0, v24
	s_cbranch_execz .LBB1_333
; %bb.330:                              ;   in Loop: Header=BB1_280 Depth=1
	v_mov_b32_e32 v20, 0
	v_mov_b32_e32 v21, 0
	s_mov_b64 s[4:5], 0
	s_mov_b32 s12, 0
	.p2align	6
.LBB1_331:                              ;   Parent Loop BB1_280 Depth=1
                                        ; =>  This Inner Loop Header: Depth=2
	global_load_ubyte v6, v[22:23], off
	v_mov_b32_e32 v31, s16
	v_add_nc_u32_e32 v24, -1, v24
	v_add_co_u32 v22, vcc_lo, v22, 1
	v_add_co_ci_u32_e64 v23, null, 0, v23, vcc_lo
	v_cmp_eq_u32_e32 vcc_lo, 0, v24
	s_waitcnt vmcnt(0)
	v_and_b32_e32 v30, 0xffff, v6
	v_lshlrev_b64 v[30:31], s4, v[30:31]
	s_add_u32 s4, s4, 8
	s_addc_u32 s5, s5, 0
	s_or_b32 s12, vcc_lo, s12
	v_or_b32_e32 v21, v31, v21
	v_or_b32_e32 v20, v30, v20
	s_andn2_b32 exec_lo, exec_lo, s12
	s_cbranch_execnz .LBB1_331
; %bb.332:                              ;   in Loop: Header=BB1_280 Depth=1
	s_or_b32 exec_lo, exec_lo, s12
.LBB1_333:                              ;   in Loop: Header=BB1_280 Depth=1
	s_or_b32 exec_lo, exec_lo, s11
                                        ; implicit-def: $vgpr22_vgpr23
.LBB1_334:                              ;   in Loop: Header=BB1_280 Depth=1
	s_andn2_saveexec_b32 s4, s10
	s_cbranch_execz .LBB1_336
; %bb.335:                              ;   in Loop: Header=BB1_280 Depth=1
	global_load_dwordx2 v[20:21], v[22:23], off
.LBB1_336:                              ;   in Loop: Header=BB1_280 Depth=1
	s_or_b32 exec_lo, exec_lo, s4
	v_readfirstlane_b32 s4, v32
	v_mov_b32_e32 v30, 0
	v_mov_b32_e32 v31, 0
	v_cmp_eq_u32_e64 s4, s4, v32
	s_and_saveexec_b32 s5, s4
	s_cbranch_execz .LBB1_342
; %bb.337:                              ;   in Loop: Header=BB1_280 Depth=1
	global_load_dwordx2 v[24:25], v7, s[6:7] offset:24 glc dlc
	s_waitcnt vmcnt(0)
	buffer_gl1_inv
	buffer_gl0_inv
	s_clause 0x1
	global_load_dwordx2 v[22:23], v7, s[6:7] offset:40
	global_load_dwordx2 v[30:31], v7, s[6:7]
	s_mov_b32 s10, exec_lo
	s_waitcnt vmcnt(1)
	v_and_b32_e32 v6, v23, v25
	v_and_b32_e32 v22, v22, v24
	v_mul_lo_u32 v6, v6, 24
	v_mul_hi_u32 v23, v22, 24
	v_mul_lo_u32 v22, v22, 24
	v_add_nc_u32_e32 v6, v23, v6
	s_waitcnt vmcnt(0)
	v_add_co_u32 v22, vcc_lo, v30, v22
	v_add_co_ci_u32_e64 v23, null, v31, v6, vcc_lo
	global_load_dwordx2 v[22:23], v[22:23], off glc dlc
	s_waitcnt vmcnt(0)
	global_atomic_cmpswap_x2 v[30:31], v7, v[22:25], s[6:7] offset:24 glc
	s_waitcnt vmcnt(0)
	buffer_gl1_inv
	buffer_gl0_inv
	v_cmpx_ne_u64_e64 v[30:31], v[24:25]
	s_cbranch_execz .LBB1_341
; %bb.338:                              ;   in Loop: Header=BB1_280 Depth=1
	s_mov_b32 s11, 0
	.p2align	6
.LBB1_339:                              ;   Parent Loop BB1_280 Depth=1
                                        ; =>  This Inner Loop Header: Depth=2
	s_sleep 1
	s_clause 0x1
	global_load_dwordx2 v[22:23], v7, s[6:7] offset:40
	global_load_dwordx2 v[35:36], v7, s[6:7]
	v_mov_b32_e32 v24, v30
	v_mov_b32_e32 v25, v31
	s_waitcnt vmcnt(1)
	v_and_b32_e32 v6, v22, v24
	v_and_b32_e32 v22, v23, v25
	s_waitcnt vmcnt(0)
	v_mad_u64_u32 v[30:31], null, v6, 24, v[35:36]
	v_mov_b32_e32 v6, v31
	v_mad_u64_u32 v[22:23], null, v22, 24, v[6:7]
	v_mov_b32_e32 v31, v22
	global_load_dwordx2 v[22:23], v[30:31], off glc dlc
	s_waitcnt vmcnt(0)
	global_atomic_cmpswap_x2 v[30:31], v7, v[22:25], s[6:7] offset:24 glc
	s_waitcnt vmcnt(0)
	buffer_gl1_inv
	buffer_gl0_inv
	v_cmp_eq_u64_e32 vcc_lo, v[30:31], v[24:25]
	s_or_b32 s11, vcc_lo, s11
	s_andn2_b32 exec_lo, exec_lo, s11
	s_cbranch_execnz .LBB1_339
; %bb.340:                              ;   in Loop: Header=BB1_280 Depth=1
	s_or_b32 exec_lo, exec_lo, s11
.LBB1_341:                              ;   in Loop: Header=BB1_280 Depth=1
	s_or_b32 exec_lo, exec_lo, s10
.LBB1_342:                              ;   in Loop: Header=BB1_280 Depth=1
	s_or_b32 exec_lo, exec_lo, s5
	s_clause 0x1
	global_load_dwordx2 v[35:36], v7, s[6:7] offset:40
	global_load_dwordx4 v[22:25], v7, s[6:7]
	v_readfirstlane_b32 s11, v31
	v_readfirstlane_b32 s10, v30
	s_mov_b32 s5, exec_lo
	s_waitcnt vmcnt(1)
	v_readfirstlane_b32 s12, v35
	v_readfirstlane_b32 s13, v36
	s_and_b64 s[12:13], s[12:13], s[10:11]
	s_mul_i32 s17, s13, 24
	s_mul_hi_u32 s18, s12, 24
	s_mul_i32 s19, s12, 24
	s_add_i32 s18, s18, s17
	s_waitcnt vmcnt(0)
	v_add_co_u32 v30, vcc_lo, v22, s19
	v_add_co_ci_u32_e64 v31, null, s18, v23, vcc_lo
	s_and_saveexec_b32 s17, s4
	s_cbranch_execz .LBB1_344
; %bb.343:                              ;   in Loop: Header=BB1_280 Depth=1
	v_mov_b32_e32 v6, s5
	global_store_dwordx4 v[30:31], v[6:9], off offset:8
.LBB1_344:                              ;   in Loop: Header=BB1_280 Depth=1
	s_or_b32 exec_lo, exec_lo, s17
	v_cmp_gt_u64_e32 vcc_lo, 57, v[26:27]
	s_lshl_b64 s[12:13], s[12:13], 12
	v_and_b32_e32 v0, 0xffffff1f, v0
	v_lshl_add_u32 v35, v28, 2, 28
	v_cndmask_b32_e32 v6, 0, v34, vcc_lo
	v_add_co_u32 v24, vcc_lo, v24, s12
	v_add_co_ci_u32_e64 v25, null, s13, v25, vcc_lo
	v_or_b32_e32 v0, v0, v6
	v_readfirstlane_b32 s12, v24
	v_readfirstlane_b32 s13, v25
	v_and_or_b32 v0, 0x1e0, v35, v0
	global_store_dwordx4 v33, v[10:13], s[12:13] offset:16
	global_store_dwordx4 v33, v[14:17], s[12:13] offset:32
	global_store_dwordx4 v33, v[0:3], s[12:13]
	global_store_dwordx4 v33, v[18:21], s[12:13] offset:48
	s_and_saveexec_b32 s5, s4
	s_cbranch_execz .LBB1_352
; %bb.345:                              ;   in Loop: Header=BB1_280 Depth=1
	s_clause 0x1
	global_load_dwordx2 v[14:15], v7, s[6:7] offset:32 glc dlc
	global_load_dwordx2 v[0:1], v7, s[6:7] offset:40
	v_mov_b32_e32 v12, s10
	v_mov_b32_e32 v13, s11
	s_waitcnt vmcnt(0)
	v_readfirstlane_b32 s12, v0
	v_readfirstlane_b32 s13, v1
	s_and_b64 s[12:13], s[12:13], s[10:11]
	s_mul_i32 s13, s13, 24
	s_mul_hi_u32 s17, s12, 24
	s_mul_i32 s12, s12, 24
	s_add_i32 s17, s17, s13
	v_add_co_u32 v10, vcc_lo, v22, s12
	v_add_co_ci_u32_e64 v11, null, s17, v23, vcc_lo
	s_mov_b32 s12, exec_lo
	global_store_dwordx2 v[10:11], v[14:15], off
	s_waitcnt_vscnt null, 0x0
	global_atomic_cmpswap_x2 v[2:3], v7, v[12:15], s[6:7] offset:32 glc
	s_waitcnt vmcnt(0)
	v_cmpx_ne_u64_e64 v[2:3], v[14:15]
	s_cbranch_execz .LBB1_348
; %bb.346:                              ;   in Loop: Header=BB1_280 Depth=1
	s_mov_b32 s13, 0
.LBB1_347:                              ;   Parent Loop BB1_280 Depth=1
                                        ; =>  This Inner Loop Header: Depth=2
	v_mov_b32_e32 v0, s10
	v_mov_b32_e32 v1, s11
	s_sleep 1
	global_store_dwordx2 v[10:11], v[2:3], off
	s_waitcnt_vscnt null, 0x0
	global_atomic_cmpswap_x2 v[0:1], v7, v[0:3], s[6:7] offset:32 glc
	s_waitcnt vmcnt(0)
	v_cmp_eq_u64_e32 vcc_lo, v[0:1], v[2:3]
	v_mov_b32_e32 v3, v1
	v_mov_b32_e32 v2, v0
	s_or_b32 s13, vcc_lo, s13
	s_andn2_b32 exec_lo, exec_lo, s13
	s_cbranch_execnz .LBB1_347
.LBB1_348:                              ;   in Loop: Header=BB1_280 Depth=1
	s_or_b32 exec_lo, exec_lo, s12
	global_load_dwordx2 v[0:1], v7, s[6:7] offset:16
	s_mov_b32 s13, exec_lo
	s_mov_b32 s12, exec_lo
	v_mbcnt_lo_u32_b32 v2, s13, 0
	v_cmpx_eq_u32_e32 0, v2
	s_cbranch_execz .LBB1_350
; %bb.349:                              ;   in Loop: Header=BB1_280 Depth=1
	s_bcnt1_i32_b32 s13, s13
	v_mov_b32_e32 v6, s13
	s_waitcnt vmcnt(0)
	global_atomic_add_x2 v[0:1], v[6:7], off offset:8
.LBB1_350:                              ;   in Loop: Header=BB1_280 Depth=1
	s_or_b32 exec_lo, exec_lo, s12
	s_waitcnt vmcnt(0)
	global_load_dwordx2 v[2:3], v[0:1], off offset:16
	s_waitcnt vmcnt(0)
	v_cmp_eq_u64_e32 vcc_lo, 0, v[2:3]
	s_cbranch_vccnz .LBB1_352
; %bb.351:                              ;   in Loop: Header=BB1_280 Depth=1
	global_load_dword v6, v[0:1], off offset:24
	s_waitcnt vmcnt(0)
	v_readfirstlane_b32 s12, v6
	s_waitcnt_vscnt null, 0x0
	global_store_dwordx2 v[2:3], v[6:7], off
	s_and_b32 m0, s12, 0x7fffff
	s_sendmsg sendmsg(MSG_INTERRUPT)
.LBB1_352:                              ;   in Loop: Header=BB1_280 Depth=1
	s_or_b32 exec_lo, exec_lo, s5
	v_add_co_u32 v0, vcc_lo, v24, v33
	v_add_co_ci_u32_e64 v1, null, 0, v25, vcc_lo
	s_branch .LBB1_356
	.p2align	6
.LBB1_353:                              ;   in Loop: Header=BB1_356 Depth=2
	s_or_b32 exec_lo, exec_lo, s5
	v_readfirstlane_b32 s5, v2
	s_cmp_eq_u32 s5, 0
	s_cbranch_scc1 .LBB1_355
; %bb.354:                              ;   in Loop: Header=BB1_356 Depth=2
	s_sleep 1
	s_cbranch_execnz .LBB1_356
	s_branch .LBB1_358
	.p2align	6
.LBB1_355:                              ;   in Loop: Header=BB1_280 Depth=1
	s_branch .LBB1_358
.LBB1_356:                              ;   Parent Loop BB1_280 Depth=1
                                        ; =>  This Inner Loop Header: Depth=2
	v_mov_b32_e32 v2, 1
	s_and_saveexec_b32 s5, s4
	s_cbranch_execz .LBB1_353
; %bb.357:                              ;   in Loop: Header=BB1_356 Depth=2
	global_load_dword v2, v[30:31], off offset:20 glc dlc
	s_waitcnt vmcnt(0)
	buffer_gl1_inv
	buffer_gl0_inv
	v_and_b32_e32 v2, 1, v2
	s_branch .LBB1_353
.LBB1_358:                              ;   in Loop: Header=BB1_280 Depth=1
	global_load_dwordx2 v[0:1], v[0:1], off
	s_and_saveexec_b32 s12, s4
	s_cbranch_execz .LBB1_279
; %bb.359:                              ;   in Loop: Header=BB1_280 Depth=1
	s_clause 0x2
	global_load_dwordx2 v[2:3], v7, s[6:7] offset:40
	global_load_dwordx2 v[14:15], v7, s[6:7] offset:24 glc dlc
	global_load_dwordx2 v[10:11], v7, s[6:7]
	s_waitcnt vmcnt(2)
	v_readfirstlane_b32 s18, v2
	v_readfirstlane_b32 s19, v3
	s_add_u32 s13, s18, 1
	s_addc_u32 s17, s19, 0
	s_add_u32 s4, s13, s10
	s_addc_u32 s5, s17, s11
	s_cmp_eq_u64 s[4:5], 0
	s_cselect_b32 s5, s17, s5
	s_cselect_b32 s4, s13, s4
	v_mov_b32_e32 v13, s5
	s_and_b64 s[10:11], s[4:5], s[18:19]
	v_mov_b32_e32 v12, s4
	s_mul_i32 s11, s11, 24
	s_mul_hi_u32 s13, s10, 24
	s_mul_i32 s10, s10, 24
	s_add_i32 s13, s13, s11
	s_waitcnt vmcnt(0)
	v_add_co_u32 v2, vcc_lo, v10, s10
	v_add_co_ci_u32_e64 v3, null, s13, v11, vcc_lo
	global_store_dwordx2 v[2:3], v[14:15], off
	s_waitcnt_vscnt null, 0x0
	global_atomic_cmpswap_x2 v[12:13], v7, v[12:15], s[6:7] offset:24 glc
	s_waitcnt vmcnt(0)
	v_cmp_ne_u64_e32 vcc_lo, v[12:13], v[14:15]
	s_and_b32 exec_lo, exec_lo, vcc_lo
	s_cbranch_execz .LBB1_279
; %bb.360:                              ;   in Loop: Header=BB1_280 Depth=1
	s_mov_b32 s10, 0
.LBB1_361:                              ;   Parent Loop BB1_280 Depth=1
                                        ; =>  This Inner Loop Header: Depth=2
	v_mov_b32_e32 v10, s4
	v_mov_b32_e32 v11, s5
	s_sleep 1
	global_store_dwordx2 v[2:3], v[12:13], off
	s_waitcnt_vscnt null, 0x0
	global_atomic_cmpswap_x2 v[10:11], v7, v[10:13], s[6:7] offset:24 glc
	s_waitcnt vmcnt(0)
	v_cmp_eq_u64_e32 vcc_lo, v[10:11], v[12:13]
	v_mov_b32_e32 v13, v11
	v_mov_b32_e32 v12, v10
	s_or_b32 s10, vcc_lo, s10
	s_andn2_b32 exec_lo, exec_lo, s10
	s_cbranch_execnz .LBB1_361
	s_branch .LBB1_279
.LBB1_362:
	s_or_b32 exec_lo, exec_lo, s15
                                        ; implicit-def: $vgpr33
                                        ; implicit-def: $vgpr32
.LBB1_363:
	s_andn2_saveexec_b32 s14, s14
	s_cbranch_execz .LBB1_391
; %bb.364:
	v_readfirstlane_b32 s4, v32
	v_mov_b32_e32 v8, 0
	v_mov_b32_e32 v9, 0
	v_cmp_eq_u32_e64 s4, s4, v32
	s_and_saveexec_b32 s5, s4
	s_cbranch_execz .LBB1_370
; %bb.365:
	v_mov_b32_e32 v2, 0
	s_mov_b32 s10, exec_lo
	global_load_dwordx2 v[5:6], v2, s[6:7] offset:24 glc dlc
	s_waitcnt vmcnt(0)
	buffer_gl1_inv
	buffer_gl0_inv
	s_clause 0x1
	global_load_dwordx2 v[3:4], v2, s[6:7] offset:40
	global_load_dwordx2 v[7:8], v2, s[6:7]
	s_waitcnt vmcnt(1)
	v_and_b32_e32 v4, v4, v6
	v_and_b32_e32 v3, v3, v5
	v_mul_lo_u32 v4, v4, 24
	v_mul_hi_u32 v9, v3, 24
	v_mul_lo_u32 v3, v3, 24
	v_add_nc_u32_e32 v4, v9, v4
	s_waitcnt vmcnt(0)
	v_add_co_u32 v3, vcc_lo, v7, v3
	v_add_co_ci_u32_e64 v4, null, v8, v4, vcc_lo
	global_load_dwordx2 v[3:4], v[3:4], off glc dlc
	s_waitcnt vmcnt(0)
	global_atomic_cmpswap_x2 v[8:9], v2, v[3:6], s[6:7] offset:24 glc
	s_waitcnt vmcnt(0)
	buffer_gl1_inv
	buffer_gl0_inv
	v_cmpx_ne_u64_e64 v[8:9], v[5:6]
	s_cbranch_execz .LBB1_369
; %bb.366:
	s_mov_b32 s11, 0
	.p2align	6
.LBB1_367:                              ; =>This Inner Loop Header: Depth=1
	s_sleep 1
	s_clause 0x1
	global_load_dwordx2 v[3:4], v2, s[6:7] offset:40
	global_load_dwordx2 v[10:11], v2, s[6:7]
	v_mov_b32_e32 v5, v8
	v_mov_b32_e32 v6, v9
	s_waitcnt vmcnt(1)
	v_and_b32_e32 v3, v3, v5
	v_and_b32_e32 v4, v4, v6
	s_waitcnt vmcnt(0)
	v_mad_u64_u32 v[7:8], null, v3, 24, v[10:11]
	v_mov_b32_e32 v3, v8
	v_mad_u64_u32 v[3:4], null, v4, 24, v[3:4]
	v_mov_b32_e32 v8, v3
	global_load_dwordx2 v[3:4], v[7:8], off glc dlc
	s_waitcnt vmcnt(0)
	global_atomic_cmpswap_x2 v[8:9], v2, v[3:6], s[6:7] offset:24 glc
	s_waitcnt vmcnt(0)
	buffer_gl1_inv
	buffer_gl0_inv
	v_cmp_eq_u64_e32 vcc_lo, v[8:9], v[5:6]
	s_or_b32 s11, vcc_lo, s11
	s_andn2_b32 exec_lo, exec_lo, s11
	s_cbranch_execnz .LBB1_367
; %bb.368:
	s_or_b32 exec_lo, exec_lo, s11
.LBB1_369:
	s_or_b32 exec_lo, exec_lo, s10
.LBB1_370:
	s_or_b32 exec_lo, exec_lo, s5
	v_mov_b32_e32 v2, 0
	v_readfirstlane_b32 s11, v9
	v_readfirstlane_b32 s10, v8
	s_mov_b32 s5, exec_lo
	s_clause 0x1
	global_load_dwordx2 v[10:11], v2, s[6:7] offset:40
	global_load_dwordx4 v[4:7], v2, s[6:7]
	s_waitcnt vmcnt(1)
	v_readfirstlane_b32 s12, v10
	v_readfirstlane_b32 s13, v11
	s_and_b64 s[12:13], s[12:13], s[10:11]
	s_mul_i32 s15, s13, 24
	s_mul_hi_u32 s16, s12, 24
	s_mul_i32 s17, s12, 24
	s_add_i32 s16, s16, s15
	s_waitcnt vmcnt(0)
	v_add_co_u32 v8, vcc_lo, v4, s17
	v_add_co_ci_u32_e64 v9, null, s16, v5, vcc_lo
	s_and_saveexec_b32 s15, s4
	s_cbranch_execz .LBB1_372
; %bb.371:
	v_mov_b32_e32 v10, s5
	v_mov_b32_e32 v11, v2
	;; [unrolled: 1-line block ×4, first 2 shown]
	global_store_dwordx4 v[8:9], v[10:13], off offset:8
.LBB1_372:
	s_or_b32 exec_lo, exec_lo, s15
	s_lshl_b64 s[12:13], s[12:13], 12
	s_mov_b32 s16, 0
	v_add_co_u32 v6, vcc_lo, v6, s12
	v_add_co_ci_u32_e64 v7, null, s13, v7, vcc_lo
	s_mov_b32 s17, s16
	v_readfirstlane_b32 s12, v6
	v_add_co_u32 v6, vcc_lo, v6, v33
	s_mov_b32 s18, s16
	s_mov_b32 s19, s16
	v_and_or_b32 v0, 0xffffff1f, v0, 32
	v_mov_b32_e32 v3, v2
	v_readfirstlane_b32 s13, v7
	v_mov_b32_e32 v10, s16
	v_add_co_ci_u32_e64 v7, null, 0, v7, vcc_lo
	v_mov_b32_e32 v11, s17
	v_mov_b32_e32 v12, s18
	;; [unrolled: 1-line block ×3, first 2 shown]
	global_store_dwordx4 v33, v[0:3], s[12:13]
	global_store_dwordx4 v33, v[10:13], s[12:13] offset:16
	global_store_dwordx4 v33, v[10:13], s[12:13] offset:32
	;; [unrolled: 1-line block ×3, first 2 shown]
	s_and_saveexec_b32 s5, s4
	s_cbranch_execz .LBB1_380
; %bb.373:
	v_mov_b32_e32 v10, 0
	v_mov_b32_e32 v11, s10
	;; [unrolled: 1-line block ×3, first 2 shown]
	s_clause 0x1
	global_load_dwordx2 v[13:14], v10, s[6:7] offset:32 glc dlc
	global_load_dwordx2 v[0:1], v10, s[6:7] offset:40
	s_waitcnt vmcnt(0)
	v_readfirstlane_b32 s12, v0
	v_readfirstlane_b32 s13, v1
	s_and_b64 s[12:13], s[12:13], s[10:11]
	s_mul_i32 s13, s13, 24
	s_mul_hi_u32 s15, s12, 24
	s_mul_i32 s12, s12, 24
	s_add_i32 s15, s15, s13
	v_add_co_u32 v4, vcc_lo, v4, s12
	v_add_co_ci_u32_e64 v5, null, s15, v5, vcc_lo
	s_mov_b32 s12, exec_lo
	global_store_dwordx2 v[4:5], v[13:14], off
	s_waitcnt_vscnt null, 0x0
	global_atomic_cmpswap_x2 v[2:3], v10, v[11:14], s[6:7] offset:32 glc
	s_waitcnt vmcnt(0)
	v_cmpx_ne_u64_e64 v[2:3], v[13:14]
	s_cbranch_execz .LBB1_376
; %bb.374:
	s_mov_b32 s13, 0
.LBB1_375:                              ; =>This Inner Loop Header: Depth=1
	v_mov_b32_e32 v0, s10
	v_mov_b32_e32 v1, s11
	s_sleep 1
	global_store_dwordx2 v[4:5], v[2:3], off
	s_waitcnt_vscnt null, 0x0
	global_atomic_cmpswap_x2 v[0:1], v10, v[0:3], s[6:7] offset:32 glc
	s_waitcnt vmcnt(0)
	v_cmp_eq_u64_e32 vcc_lo, v[0:1], v[2:3]
	v_mov_b32_e32 v3, v1
	v_mov_b32_e32 v2, v0
	s_or_b32 s13, vcc_lo, s13
	s_andn2_b32 exec_lo, exec_lo, s13
	s_cbranch_execnz .LBB1_375
.LBB1_376:
	s_or_b32 exec_lo, exec_lo, s12
	v_mov_b32_e32 v3, 0
	s_mov_b32 s13, exec_lo
	s_mov_b32 s12, exec_lo
	v_mbcnt_lo_u32_b32 v2, s13, 0
	global_load_dwordx2 v[0:1], v3, s[6:7] offset:16
	v_cmpx_eq_u32_e32 0, v2
	s_cbranch_execz .LBB1_378
; %bb.377:
	s_bcnt1_i32_b32 s13, s13
	v_mov_b32_e32 v2, s13
	s_waitcnt vmcnt(0)
	global_atomic_add_x2 v[0:1], v[2:3], off offset:8
.LBB1_378:
	s_or_b32 exec_lo, exec_lo, s12
	s_waitcnt vmcnt(0)
	global_load_dwordx2 v[2:3], v[0:1], off offset:16
	s_waitcnt vmcnt(0)
	v_cmp_eq_u64_e32 vcc_lo, 0, v[2:3]
	s_cbranch_vccnz .LBB1_380
; %bb.379:
	global_load_dword v0, v[0:1], off offset:24
	v_mov_b32_e32 v1, 0
	s_waitcnt vmcnt(0)
	v_readfirstlane_b32 s12, v0
	s_waitcnt_vscnt null, 0x0
	global_store_dwordx2 v[2:3], v[0:1], off
	s_and_b32 m0, s12, 0x7fffff
	s_sendmsg sendmsg(MSG_INTERRUPT)
.LBB1_380:
	s_or_b32 exec_lo, exec_lo, s5
	s_branch .LBB1_384
	.p2align	6
.LBB1_381:                              ;   in Loop: Header=BB1_384 Depth=1
	s_or_b32 exec_lo, exec_lo, s5
	v_readfirstlane_b32 s5, v0
	s_cmp_eq_u32 s5, 0
	s_cbranch_scc1 .LBB1_383
; %bb.382:                              ;   in Loop: Header=BB1_384 Depth=1
	s_sleep 1
	s_cbranch_execnz .LBB1_384
	s_branch .LBB1_386
	.p2align	6
.LBB1_383:
	s_branch .LBB1_386
.LBB1_384:                              ; =>This Inner Loop Header: Depth=1
	v_mov_b32_e32 v0, 1
	s_and_saveexec_b32 s5, s4
	s_cbranch_execz .LBB1_381
; %bb.385:                              ;   in Loop: Header=BB1_384 Depth=1
	global_load_dword v0, v[8:9], off offset:20 glc dlc
	s_waitcnt vmcnt(0)
	buffer_gl1_inv
	buffer_gl0_inv
	v_and_b32_e32 v0, 1, v0
	s_branch .LBB1_381
.LBB1_386:
	global_load_dwordx2 v[0:1], v[6:7], off
	s_and_saveexec_b32 s12, s4
	s_cbranch_execz .LBB1_390
; %bb.387:
	v_mov_b32_e32 v8, 0
	s_clause 0x2
	global_load_dwordx2 v[2:3], v8, s[6:7] offset:40
	global_load_dwordx2 v[11:12], v8, s[6:7] offset:24 glc dlc
	global_load_dwordx2 v[4:5], v8, s[6:7]
	s_waitcnt vmcnt(2)
	v_readfirstlane_b32 s16, v2
	v_readfirstlane_b32 s17, v3
	s_add_u32 s13, s16, 1
	s_addc_u32 s15, s17, 0
	s_add_u32 s4, s13, s10
	s_addc_u32 s5, s15, s11
	s_cmp_eq_u64 s[4:5], 0
	s_cselect_b32 s5, s15, s5
	s_cselect_b32 s4, s13, s4
	v_mov_b32_e32 v10, s5
	s_and_b64 s[10:11], s[4:5], s[16:17]
	v_mov_b32_e32 v9, s4
	s_mul_i32 s11, s11, 24
	s_mul_hi_u32 s13, s10, 24
	s_mul_i32 s10, s10, 24
	s_add_i32 s13, s13, s11
	s_waitcnt vmcnt(0)
	v_add_co_u32 v6, vcc_lo, v4, s10
	v_add_co_ci_u32_e64 v7, null, s13, v5, vcc_lo
	global_store_dwordx2 v[6:7], v[11:12], off
	s_waitcnt_vscnt null, 0x0
	global_atomic_cmpswap_x2 v[4:5], v8, v[9:12], s[6:7] offset:24 glc
	s_waitcnt vmcnt(0)
	v_cmp_ne_u64_e32 vcc_lo, v[4:5], v[11:12]
	s_and_b32 exec_lo, exec_lo, vcc_lo
	s_cbranch_execz .LBB1_390
; %bb.388:
	s_mov_b32 s10, 0
.LBB1_389:                              ; =>This Inner Loop Header: Depth=1
	v_mov_b32_e32 v2, s4
	v_mov_b32_e32 v3, s5
	s_sleep 1
	global_store_dwordx2 v[6:7], v[4:5], off
	s_waitcnt_vscnt null, 0x0
	global_atomic_cmpswap_x2 v[2:3], v8, v[2:5], s[6:7] offset:24 glc
	s_waitcnt vmcnt(0)
	v_cmp_eq_u64_e32 vcc_lo, v[2:3], v[4:5]
	v_mov_b32_e32 v5, v3
	v_mov_b32_e32 v4, v2
	s_or_b32 s10, vcc_lo, s10
	s_andn2_b32 exec_lo, exec_lo, s10
	s_cbranch_execnz .LBB1_389
.LBB1_390:
	s_or_b32 exec_lo, exec_lo, s12
.LBB1_391:
	s_or_b32 exec_lo, exec_lo, s14
	s_getpc_b64 s[4:5]
	s_add_u32 s4, s4, .str.3@rel32@lo+4
	s_addc_u32 s5, s5, .str.3@rel32@hi+12
	s_getpc_b64 s[6:7]
	s_add_u32 s6, s6, .str.3@rel32@lo+32
	s_addc_u32 s7, s7, .str.3@rel32@hi+40
	s_sub_i32 s10, s6, s4
	s_getpc_b64 s[6:7]
	s_add_u32 s6, s6, __ockl_fprintf_append_string_n@rel32@lo+4
	s_addc_u32 s7, s7, __ockl_fprintf_append_string_n@rel32@hi+12
	s_ashr_i32 s11, s10, 31
	v_mov_b32_e32 v2, s4
	v_mov_b32_e32 v3, s5
	;; [unrolled: 1-line block ×5, first 2 shown]
	s_swappc_b64 s[30:31], s[6:7]
	s_trap 2
.Lfunc_end1:
	.size	__assert_fail, .Lfunc_end1-__assert_fail
                                        ; -- End function
	.set .L__assert_fail.num_vgpr, max(40, .L__ockl_fprintf_append_string_n.num_vgpr)
	.set .L__assert_fail.num_agpr, max(0, .L__ockl_fprintf_append_string_n.num_agpr)
	.set .L__assert_fail.numbered_sgpr, max(34, .L__ockl_fprintf_append_string_n.numbered_sgpr)
	.set .L__assert_fail.num_named_barrier, max(0, .L__ockl_fprintf_append_string_n.num_named_barrier)
	.set .L__assert_fail.private_seg_size, 64+max(.L__ockl_fprintf_append_string_n.private_seg_size)
	.set .L__assert_fail.uses_vcc, or(1, .L__ockl_fprintf_append_string_n.uses_vcc)
	.set .L__assert_fail.uses_flat_scratch, or(0, .L__ockl_fprintf_append_string_n.uses_flat_scratch)
	.set .L__assert_fail.has_dyn_sized_stack, or(0, .L__ockl_fprintf_append_string_n.has_dyn_sized_stack)
	.set .L__assert_fail.has_recursion, or(0, .L__ockl_fprintf_append_string_n.has_recursion)
	.set .L__assert_fail.has_indirect_call, or(0, .L__ockl_fprintf_append_string_n.has_indirect_call)
	.section	.AMDGPU.csdata,"",@progbits
; Function info:
; codeLenInByte = 15432
; TotalNumSgprs: 36
; NumVgprs: 40
; ScratchSize: 64
; MemoryBound: 0
	.text
	.p2align	2                               ; -- Begin function _ZN12_GLOBAL__N_17runRingIm14FuncSumPostDivImE11ProtoSimpleILi2ELi2ELi0ELi1ELi0ELi0EELi0ELi0ELi1ELi0EEEviiP15ncclDevWorkColl
	.type	_ZN12_GLOBAL__N_17runRingIm14FuncSumPostDivImE11ProtoSimpleILi2ELi2ELi0ELi1ELi0ELi0EELi0ELi0ELi1ELi0EEEviiP15ncclDevWorkColl,@function
_ZN12_GLOBAL__N_17runRingIm14FuncSumPostDivImE11ProtoSimpleILi2ELi2ELi0ELi1ELi0ELi0EELi0ELi0ELi1ELi0EEEviiP15ncclDevWorkColl: ; @_ZN12_GLOBAL__N_17runRingIm14FuncSumPostDivImE11ProtoSimpleILi2ELi2ELi0ELi1ELi0ELi0EELi0ELi0ELi1ELi0EEEviiP15ncclDevWorkColl
; %bb.0:
	s_waitcnt vmcnt(0) expcnt(0) lgkmcnt(0)
	s_mov_b32 s90, s33
	s_mov_b32 s33, s32
	s_or_saveexec_b32 s4, -1
	buffer_store_dword v95, off, s[0:3], s33 offset:124 ; 4-byte Folded Spill
	s_mov_b32 exec_lo, s4
	s_addk_i32 s32, 0x1200
	buffer_store_dword v40, off, s[0:3], s33 offset:120 ; 4-byte Folded Spill
	buffer_store_dword v41, off, s[0:3], s33 offset:116 ; 4-byte Folded Spill
	;; [unrolled: 1-line block ×30, first 2 shown]
	buffer_store_dword v94, off, s[0:3], s33 ; 4-byte Folded Spill
	v_writelane_b32 v95, s30, 0
	v_writelane_b32 v95, s31, 1
	s_trap 2
	flat_load_dword v9, v[2:3]
	ds_read_b32 v6, v0
                                        ; implicit-def: $vgpr28_vgpr29
                                        ; implicit-def: $vgpr14_vgpr15
                                        ; implicit-def: $vgpr4_vgpr5
	s_waitcnt lgkmcnt(0)
	v_readfirstlane_b32 s41, v6
	s_waitcnt vmcnt(0)
	v_cmp_ne_u32_sdwa s4, v6, v9 src0_sel:DWORD src1_sel:BYTE_0
	s_and_saveexec_b32 s5, s4
	s_xor_b32 s4, exec_lo, s5
	s_cbranch_execz .LBB2_6
; %bb.1:
	v_not_b32_sdwa v8, v9 dst_sel:DWORD dst_unused:UNUSED_PAD src0_sel:BYTE_0
	v_cmp_ne_u32_sdwa s5, v6, v9 src0_sel:DWORD src1_sel:BYTE_1
                                        ; implicit-def: $vgpr28_vgpr29
                                        ; implicit-def: $vgpr14_vgpr15
                                        ; implicit-def: $vgpr4_vgpr5
	s_and_saveexec_b32 s6, s5
	s_xor_b32 s5, exec_lo, s6
	s_cbranch_execz .LBB2_3
; %bb.2:
	s_clause 0x1
	flat_load_dwordx4 v[9:12], v[2:3] offset:72
	flat_load_dwordx2 v[4:5], v[2:3] offset:96
	v_add_nc_u32_e32 v6, v6, v8
                                        ; implicit-def: $vgpr8
	v_ashrrev_i32_e32 v7, 31, v6
	s_waitcnt vmcnt(1) lgkmcnt(1)
	v_mul_lo_u32 v7, v11, v7
	v_mad_u64_u32 v[14:15], null, v11, v6, v[9:10]
	v_mul_lo_u32 v6, v12, v6
	s_waitcnt vmcnt(0) lgkmcnt(0)
	v_lshrrev_b64 v[28:29], 15, v[4:5]
	v_mov_b32_e32 v4, v11
	v_mov_b32_e32 v5, v12
                                        ; implicit-def: $vgpr9
	v_add3_u32 v15, v6, v15, v7
.LBB2_3:
	s_andn2_saveexec_b32 s5, s5
	s_cbranch_execz .LBB2_5
; %bb.4:
	s_clause 0x1
	flat_load_dwordx4 v[10:13], v[2:3] offset:72
	flat_load_dwordx4 v[4:7], v[2:3] offset:88
	s_waitcnt vmcnt(0) lgkmcnt(0)
	v_add_nc_u32_sdwa v6, v9, v8 dst_sel:DWORD dst_unused:UNUSED_PAD src0_sel:BYTE_1 src1_sel:DWORD
	v_ashrrev_i32_e32 v8, 31, v6
	v_mul_lo_u32 v8, v12, v8
	v_mad_u64_u32 v[14:15], null, v12, v6, v[10:11]
	v_mul_lo_u32 v6, v13, v6
	v_lshrrev_b32_e32 v28, 4, v7
	v_add3_u32 v15, v6, v15, v8
.LBB2_5:
	s_or_b32 exec_lo, exec_lo, s5
.LBB2_6:
	s_andn2_saveexec_b32 s4, s4
	s_cbranch_execz .LBB2_8
; %bb.7:
	s_clause 0x1
	flat_load_dwordx2 v[6:7], v[2:3] offset:96
	flat_load_dwordx2 v[4:5], v[2:3] offset:72
	v_mov_b32_e32 v14, 0
	v_mov_b32_e32 v15, 0
	s_waitcnt vmcnt(1) lgkmcnt(1)
	v_lshlrev_b64 v[28:29], 6, v[6:7]
.LBB2_8:
	s_or_b32 exec_lo, exec_lo, s4
	s_trap 2
	ds_read_b64 v[6:7], v0
	s_mov_b32 s5, exec_lo
	s_waitcnt lgkmcnt(0)
	v_cmp_ne_u32_e32 vcc_lo, -1, v6
	v_cndmask_b32_e64 v34, 0, 1, vcc_lo
	v_cmp_ne_u32_e32 vcc_lo, -1, v7
	v_add_co_ci_u32_e64 v8, null, 0, v34, vcc_lo
	v_lshlrev_b32_e32 v6, 1, v8
	v_cmpx_le_u32_e64 v6, v1
	s_xor_b32 s40, exec_lo, s5
	s_cbranch_execz .LBB2_1306
; %bb.9:
	s_clause 0x3
	flat_load_dwordx4 v[10:13], v[2:3] offset:16
	flat_load_dwordx2 v[29:30], v[2:3] offset:104
	flat_load_ushort v7, v[2:3] offset:8
	flat_load_dword v6, v[2:3] offset:4
	s_trap 2
	s_load_dword s4, s[8:9], 0x0
	v_mov_b32_e32 v9, 0
	v_mov_b32_e32 v87, 4
	s_waitcnt lgkmcnt(0)
	s_cmp_lt_u32 s12, s4
	s_cselect_b32 s4, 12, 18
	s_add_u32 s4, s8, s4
	s_addc_u32 s5, s9, 0
	global_load_ushort v86, v9, s[4:5]
	ds_read_b32 v9, v0
	s_mov_b32 s5, exec_lo
	s_waitcnt lgkmcnt(0)
	v_readfirstlane_b32 s11, v9
	v_cmpx_ge_u32_e64 v0, v34
	s_cbranch_execz .LBB2_19
; %bb.10:
	v_cmp_ge_u32_e64 s4, v0, v8
                                        ; implicit-def: $vgpr87
	s_and_saveexec_b32 s6, s4
	s_xor_b32 s4, exec_lo, s6
	s_cbranch_execz .LBB2_16
; %bb.11:
	v_cndmask_b32_e64 v9, 0, 1, vcc_lo
	s_mov_b32 s6, exec_lo
	v_sub_nc_u32_e32 v9, v1, v9
	v_cmpx_ge_u32_e64 v0, v9
	s_xor_b32 s6, exec_lo, s6
; %bb.12:
                                        ; implicit-def: $vgpr8
; %bb.13:
	s_or_saveexec_b32 s6, s6
	v_mov_b32_e32 v87, 16
	s_xor_b32 exec_lo, exec_lo, s6
; %bb.14:
	v_sub_nc_u32_e32 v8, v1, v8
	v_cmp_lt_i32_e32 vcc_lo, v0, v8
	v_cndmask_b32_e64 v87, 32, 0, vcc_lo
; %bb.15:
	s_or_b32 exec_lo, exec_lo, s6
.LBB2_16:
	s_andn2_saveexec_b32 s4, s4
; %bb.17:
	v_mov_b32_e32 v87, 8
; %bb.18:
	s_or_b32 exec_lo, exec_lo, s4
.LBB2_19:
	s_or_b32 exec_lo, exec_lo, s5
	v_and_b32_e32 v8, 36, v87
	v_cmp_ne_u32_e32 vcc_lo, 0, v8
	v_mov_b32_e32 v8, -1
	s_and_saveexec_b32 s4, vcc_lo
	s_cbranch_execz .LBB2_21
; %bb.20:
	s_trap 2
	ds_read_b32 v8, v0
.LBB2_21:
	s_or_b32 exec_lo, exec_lo, s4
	v_and_b32_e32 v9, 24, v87
	s_mov_b32 s5, exec_lo
	v_cmpx_ne_u32_e32 0, v9
	s_cbranch_execz .LBB2_23
; %bb.22:
	s_trap 2
	s_waitcnt lgkmcnt(0)
	ds_read_b32 v8, v0
.LBB2_23:
	s_or_b32 exec_lo, exec_lo, s5
	s_waitcnt vmcnt(1)
	v_lshrrev_b64 v[16:17], 31, v[6:7]
	v_mov_b32_e32 v18, 0
	v_mov_b32_e32 v6, 0
	;; [unrolled: 1-line block ×4, first 2 shown]
                                        ; implicit-def: $vgpr96
                                        ; implicit-def: $vgpr38_vgpr39
                                        ; implicit-def: $vgpr22_vgpr23
                                        ; implicit-def: $vgpr26_vgpr27
                                        ; implicit-def: $vgpr20_vgpr21
	v_and_b32_e32 v32, 3, v16
                                        ; implicit-def: $vgpr16_vgpr17
	s_and_saveexec_b32 s4, vcc_lo
	s_cbranch_execz .LBB2_33
; %bb.24:
	s_trap 2
	ds_read_b64 v[6:7], v0
	s_waitcnt lgkmcnt(1)
	v_ashrrev_i32_e32 v9, 31, v8
	s_mov_b32 s5, exec_lo
	v_lshlrev_b64 v[16:17], 3, v[8:9]
	v_and_b32_e32 v9, 0xffff, v32
	s_waitcnt lgkmcnt(0)
	v_add_co_u32 v6, vcc_lo, v6, v16
	v_add_co_ci_u32_e64 v7, null, v7, v17, vcc_lo
                                        ; implicit-def: $vgpr16_vgpr17
	flat_load_dwordx2 v[6:7], v[6:7]
	s_waitcnt vmcnt(0) lgkmcnt(0)
	v_mad_u64_u32 v[24:25], null, 0xa8, v9, v[6:7]
	flat_load_dword v6, v[24:25] offset:640
	s_waitcnt vmcnt(0) lgkmcnt(0)
	v_cmpx_eq_u32_e32 1, v6
	s_cbranch_execz .LBB2_26
; %bb.25:
	flat_load_dwordx2 v[16:17], v[24:25] offset:648
	v_or_b32_e32 v87, 0x2000, v87
	s_waitcnt vmcnt(0) lgkmcnt(0)
	flat_load_dwordx2 v[6:7], v[16:17]
	s_trap 2
	s_waitcnt vmcnt(0) lgkmcnt(0)
	ds_write_b64 v0, v[6:7]
	flat_load_dwordx2 v[6:7], v[16:17] offset:8
	s_waitcnt vmcnt(0) lgkmcnt(0)
	ds_write_b64 v0, v[6:7]
	flat_load_dwordx2 v[6:7], v[16:17] offset:16
	s_waitcnt vmcnt(0) lgkmcnt(0)
	ds_write_b64 v0, v[6:7]
.LBB2_26:
	s_or_b32 exec_lo, exec_lo, s5
	flat_load_dwordx2 v[6:7], v[24:25] offset:608
	v_and_b32_e32 v9, 32, v87
	s_mov_b32 s5, exec_lo
                                        ; implicit-def: $vgpr20_vgpr21
	s_waitcnt vmcnt(0) lgkmcnt(0)
	v_add_co_u32 v6, vcc_lo, v6, 3
	v_add_co_ci_u32_e64 v39, null, 0, v7, vcc_lo
	v_and_b32_e32 v38, -4, v6
	v_cmpx_ne_u32_e32 0, v9
	s_cbranch_execz .LBB2_28
; %bb.27:
	flat_load_dwordx2 v[20:21], v[24:25] offset:560
	s_waitcnt vmcnt(0) lgkmcnt(0)
	s_waitcnt_vscnt null, 0x0
	flat_store_dwordx2 v[20:21], v[38:39]
.LBB2_28:
	s_or_b32 exec_lo, exec_lo, s5
	v_add_co_u32 v18, vcc_lo, 0x1f8, v24
	v_mov_b32_e32 v6, 0
	v_and_b32_e32 v9, 4, v87
	v_add_co_ci_u32_e64 v19, null, 0, v25, vcc_lo
	v_mov_b32_e32 v7, 0
	s_mov_b32 s5, exec_lo
                                        ; implicit-def: $vgpr96
                                        ; implicit-def: $vgpr22_vgpr23
                                        ; implicit-def: $vgpr26_vgpr27
	v_cmpx_ne_u32_e32 0, v9
	s_cbranch_execz .LBB2_32
; %bb.29:
	v_and_b32_e32 v6, 0x800, v87
	s_mov_b32 s6, exec_lo
	v_cmpx_eq_u32_e32 0, v6
	s_cbranch_execz .LBB2_31
; %bb.30:
	s_trap 2
	ds_write_b64 v0, v[18:19]
.LBB2_31:
	s_or_b32 exec_lo, exec_lo, s6
	flat_load_dwordx2 v[20:21], v[24:25] offset:552
	s_waitcnt vmcnt(0) lgkmcnt(0)
	flat_load_dwordx2 v[26:27], v[20:21] glc dlc
	s_clause 0x2
	flat_load_dword v9, v[24:25] offset:576
	flat_load_dwordx2 v[6:7], v[24:25] offset:600
	flat_load_dwordx2 v[22:23], v[24:25] offset:520
	v_or_b32_e32 v24, 0x100, v87
	s_waitcnt vmcnt(2) lgkmcnt(2)
	v_ashrrev_i32_e32 v96, 3, v9
	s_waitcnt vmcnt(1) lgkmcnt(1)
	v_cmp_eq_u64_e32 vcc_lo, 0, v[6:7]
	v_cndmask_b32_e32 v87, v24, v87, vcc_lo
.LBB2_32:
	s_or_b32 exec_lo, exec_lo, s5
.LBB2_33:
	s_or_b32 exec_lo, exec_lo, s4
	v_and_b32_e32 v9, 24, v87
	s_mov_b32 s4, exec_lo
                                        ; implicit-def: $vgpr24_vgpr25
	v_cmpx_ne_u32_e32 0, v9
	s_cbranch_execz .LBB2_41
; %bb.34:
	s_trap 2
	ds_read_b64 v[6:7], v0
	s_waitcnt lgkmcnt(1)
	v_ashrrev_i32_e32 v9, 31, v8
	v_or_b32_e32 v24, 0x100, v87
	v_lshlrev_b64 v[8:9], 3, v[8:9]
	s_waitcnt lgkmcnt(0)
	v_add_co_u32 v6, vcc_lo, v6, v8
	v_add_co_ci_u32_e64 v7, null, v7, v9, vcc_lo
	v_and_b32_e32 v8, 0xffff, v32
	flat_load_dwordx2 v[6:7], v[6:7]
	s_waitcnt vmcnt(0) lgkmcnt(0)
	v_mad_u64_u32 v[18:19], null, 0xa8, v8, v[6:7]
	flat_load_dwordx4 v[6:9], v[18:19] offset:96
	s_waitcnt vmcnt(0) lgkmcnt(0)
	v_cmp_eq_u64_e32 vcc_lo, 0, v[6:7]
	v_cndmask_b32_e32 v87, v24, v87, vcc_lo
	v_and_b32_e32 v24, 16, v87
	v_cmp_ne_u32_e32 vcc_lo, 0, v24
                                        ; implicit-def: $vgpr24_vgpr25
	s_and_saveexec_b32 s5, vcc_lo
	s_cbranch_execz .LBB2_36
; %bb.35:
	s_clause 0x2
	flat_load_dwordx2 v[20:21], v[18:19] offset:48
	flat_load_dwordx2 v[24:25], v[18:19] offset:120
	flat_load_dwordx2 v[22:23], v[18:19] offset:16
.LBB2_36:
	s_or_b32 exec_lo, exec_lo, s5
	v_add_co_u32 v8, vcc_lo, v8, 3
	v_and_b32_e32 v32, 8, v87
	v_add_co_ci_u32_e64 v39, null, 0, v9, vcc_lo
	v_and_b32_e32 v38, -4, v8
	s_mov_b32 s5, exec_lo
	v_cmpx_ne_u32_e32 0, v32
	s_cbranch_execz .LBB2_40
; %bb.37:
	v_and_b32_e32 v8, 0x800, v87
	s_mov_b32 s6, exec_lo
	v_cmpx_eq_u32_e32 0, v8
	s_cbranch_execz .LBB2_39
; %bb.38:
	s_trap 2
	ds_write_b64 v0, v[18:19]
.LBB2_39:
	s_or_b32 exec_lo, exec_lo, s6
	s_waitcnt vmcnt(2) lgkmcnt(2)
	flat_load_dwordx2 v[20:21], v[18:19] offset:56
	s_waitcnt vmcnt(0) lgkmcnt(0)
	flat_load_dwordx2 v[26:27], v[20:21] glc dlc
	s_clause 0x1
	flat_load_dword v8, v[18:19] offset:72
	flat_load_dwordx2 v[22:23], v[18:19] offset:16
	s_waitcnt vmcnt(1) lgkmcnt(1)
	v_ashrrev_i32_e32 v96, 3, v8
.LBB2_40:
	s_or_b32 exec_lo, exec_lo, s5
.LBB2_41:
	s_or_b32 exec_lo, exec_lo, s4
	v_cmp_eq_u32_e64 s4, 0, v0
	s_and_saveexec_b32 s5, s4
	s_cbranch_execz .LBB2_43
; %bb.42:
	s_waitcnt lgkmcnt(0)
	flat_load_dwordx2 v[8:9], v[2:3] offset:32
	ds_write2_b64 v0, v[12:13], v[10:11] offset1:1
	s_trap 2
	s_waitcnt vmcnt(0) lgkmcnt(1)
	ds_write_b64 v0, v[8:9]
	ds_write_b64 v0, v[29:30]
.LBB2_43:
	s_or_b32 exec_lo, exec_lo, s5
	v_mov_b32_e32 v12, 0
	v_mov_b32_e32 v13, 0
	s_mov_b32 s42, exec_lo
	v_cmpx_lt_i64_e32 0, v[4:5]
	s_cbranch_execz .LBB2_1272
; %bb.44:
	s_waitcnt lgkmcnt(0)
	flat_load_dword v8, v[2:3] offset:4
	v_lshrrev_b32_e32 v97, 5, v1
	s_ashr_i32 s12, s11, 31
	v_lshlrev_b32_e32 v10, 3, v1
	s_lshr_b32 s12, s12, 29
	v_mov_b32_e32 v3, 0
	v_lshlrev_b32_e32 v113, 9, v97
	s_add_i32 s15, s11, s12
	s_ashr_i32 s43, s41, 31
	s_ashr_i32 s15, s15, 6
	v_and_b32_e32 v2, 0x7ffffc0, v28
	s_add_u32 s45, s41, -1
	v_add_nc_u32_e32 v116, 0xfffffe00, v113
	v_lshlrev_b32_e32 v114, 8, v97
	s_addc_u32 s46, s43, -1
	s_add_i32 s47, s41, s41
	s_not_b32 s16, s41
	s_cmp_gt_i32 s41, 0
	v_and_b32_e32 v115, 0xff00, v10
	v_mov_b32_e32 v37, v3
	s_cselect_b32 s16, s16, -1
	s_lshr_b32 s17, s15, 28
	v_mad_i64_i32 v[32:33], null, v2, s41, 0
	v_mov_b32_e32 v36, v2
	v_ashrrev_i32_e32 v119, 31, v116
	v_add_nc_u32_e32 v117, 0xffffff00, v114
	s_add_i32 s15, s15, s17
	v_add_nc_u32_e32 v118, 0xffffff00, v115
	s_ashr_i32 s58, s15, 4
	v_add_co_u32 v42, s15, 0x200, v116
	v_and_b32_e32 v9, 31, v31
	v_and_b32_e32 v98, 31, v0
	s_add_i32 s56, s16, s47
	v_add_co_ci_u32_e64 v43, null, 0, v119, s15
	s_ashr_i32 s57, s56, 31
	v_ashrrev_i32_e32 v40, 31, v117
	s_cmp_gt_i32 s41, 2
	v_ashrrev_i32_e32 v41, 31, v118
	v_lshrrev_b32_e32 v99, 5, v0
	v_cmp_eq_u32_e64 s11, 0, v9
	v_lshlrev_b32_e32 v9, 4, v98
	s_cselect_b32 s59, -1, 0
	s_add_i32 s17, s41, 1
	v_add_co_u32 v44, s16, 0x100, v117
	v_add_co_ci_u32_e64 v45, null, 0, v40, s16
	v_add_co_u32 v46, s16, 0x100, v118
	v_cmp_ge_u32_e32 vcc_lo, v0, v1
	v_mov_b32_e32 v28, 0
	s_waitcnt vmcnt(2)
	v_cmp_eq_u64_e64 s7, 0, v[24:25]
	v_cmp_ne_u64_e64 s10, 0, v[24:25]
	v_mov_b32_e32 v12, 0
	v_add_co_ci_u32_e64 v47, null, 0, v41, s16
	v_ashrrev_i32_e32 v30, 31, v96
	v_cmp_eq_u32_e64 s5, 32, v1
	v_cmp_ne_u32_e64 s6, 32, v1
	s_waitcnt vmcnt(1)
	v_cmp_ne_u32_sdwa s44, v1, v86 src0_sel:DWORD src1_sel:WORD_0
	v_mov_b32_e32 v29, 0
	v_lshlrev_b32_e32 v100, 4, v0
	v_mov_b32_e32 v101, 1
	v_mov_b32_e32 v102, 0x90
	;; [unrolled: 1-line block ×4, first 2 shown]
	v_cmp_eq_u32_e64 s12, 0, v98
	v_cmp_lt_u32_e64 s13, v98, v34
	v_lshlrev_b32_e32 v112, 10, v97
	v_cmp_le_u32_e64 s14, v98, v34
	v_mov_b32_e32 v35, v3
	v_lshl_or_b32 v34, v99, 10, v9
	s_mov_b32 s23, 0
	s_brev_b32 s21, 1
	s_mov_b32 s73, 0
	s_trap 2
	s_waitcnt vmcnt(0) lgkmcnt(0)
	v_and_b32_e32 v2, 1, v8
	v_cmp_eq_u32_e64 s15, 1, v2
	s_xor_b32 s60, s15, -1
	s_cmp_ge_i32 s17, s41
	s_cselect_b32 s16, s41, 0
	s_add_i32 s61, s41, -2
	s_sub_i32 s63, s17, s16
	s_xor_b32 s62, vcc_lo, -1
	s_ashr_i32 s24, s43, 31
	s_sub_i32 s72, 0, s41
	s_ashr_i32 s74, s63, 31
	s_branch .LBB2_47
.LBB2_45:                               ;   in Loop: Header=BB2_47 Depth=1
	s_or_b32 exec_lo, exec_lo, s18
.LBB2_46:                               ;   in Loop: Header=BB2_47 Depth=1
	s_or_b32 exec_lo, exec_lo, s17
	v_add_co_u32 v28, vcc_lo, v28, v32
	v_add_co_ci_u32_e64 v29, null, v29, v33, vcc_lo
	v_cmp_ge_i64_e32 vcc_lo, v[28:29], v[4:5]
	s_or_b32 s73, vcc_lo, s73
	s_andn2_b32 exec_lo, exec_lo, s73
	s_cbranch_execz .LBB2_1271
.LBB2_47:                               ; =>This Loop Header: Depth=1
                                        ;     Child Loop BB2_57 Depth 2
                                        ;       Child Loop BB2_65 Depth 3
                                        ;       Child Loop BB2_89 Depth 3
	;; [unrolled: 1-line block ×9, first 2 shown]
                                        ;     Child Loop BB2_201 Depth 2
                                        ;       Child Loop BB2_207 Depth 3
                                        ;       Child Loop BB2_231 Depth 3
	;; [unrolled: 1-line block ×3, first 2 shown]
                                        ;     Child Loop BB2_275 Depth 2
                                        ;       Child Loop BB2_278 Depth 3
                                        ;         Child Loop BB2_286 Depth 4
                                        ;         Child Loop BB2_314 Depth 4
	;; [unrolled: 1-line block ×9, first 2 shown]
                                        ;       Child Loop BB2_424 Depth 3
                                        ;         Child Loop BB2_430 Depth 4
                                        ;         Child Loop BB2_458 Depth 4
	;; [unrolled: 1-line block ×3, first 2 shown]
                                        ;     Child Loop BB2_499 Depth 2
                                        ;       Child Loop BB2_507 Depth 3
                                        ;       Child Loop BB2_533 Depth 3
	;; [unrolled: 1-line block ×4, first 2 shown]
                                        ;         Child Loop BB2_587 Depth 4
                                        ;       Child Loop BB2_598 Depth 3
                                        ;         Child Loop BB2_599 Depth 4
                                        ;       Child Loop BB2_613 Depth 3
	;; [unrolled: 2-line block ×4, first 2 shown]
                                        ;       Child Loop BB2_656 Depth 3
                                        ;       Child Loop BB2_669 Depth 3
	;; [unrolled: 1-line block ×5, first 2 shown]
                                        ;     Child Loop BB2_726 Depth 2
                                        ;       Child Loop BB2_732 Depth 3
                                        ;       Child Loop BB2_758 Depth 3
	;; [unrolled: 1-line block ×3, first 2 shown]
                                        ;     Child Loop BB2_799 Depth 2
                                        ;       Child Loop BB2_802 Depth 3
                                        ;         Child Loop BB2_810 Depth 4
                                        ;         Child Loop BB2_838 Depth 4
	;; [unrolled: 1-line block ×4, first 2 shown]
                                        ;           Child Loop BB2_885 Depth 5
                                        ;         Child Loop BB2_891 Depth 4
                                        ;           Child Loop BB2_892 Depth 5
                                        ;         Child Loop BB2_901 Depth 4
	;; [unrolled: 2-line block ×4, first 2 shown]
                                        ;         Child Loop BB2_926 Depth 4
                                        ;         Child Loop BB2_934 Depth 4
	;; [unrolled: 1-line block ×5, first 2 shown]
                                        ;       Child Loop BB2_987 Depth 3
                                        ;         Child Loop BB2_993 Depth 4
                                        ;         Child Loop BB2_1021 Depth 4
	;; [unrolled: 1-line block ×3, first 2 shown]
                                        ;     Child Loop BB2_1065 Depth 2
                                        ;       Child Loop BB2_1073 Depth 3
                                        ;       Child Loop BB2_1097 Depth 3
	;; [unrolled: 1-line block ×9, first 2 shown]
                                        ;     Child Loop BB2_1205 Depth 2
                                        ;       Child Loop BB2_1211 Depth 3
                                        ;       Child Loop BB2_1235 Depth 3
	;; [unrolled: 1-line block ×3, first 2 shown]
	v_sub_co_u32 v48, vcc_lo, v4, v28
	v_sub_co_ci_u32_e64 v49, null, v5, v29, vcc_lo
	s_mov_b32 s17, exec_lo
	v_cmpx_lt_i64_e64 v[48:49], v[32:33]
	s_cbranch_execz .LBB2_53
; %bb.48:                               ;   in Loop: Header=BB2_47 Depth=1
	v_add_co_u32 v2, vcc_lo, s45, v48
	v_add_co_ci_u32_e64 v10, null, s46, v49, vcc_lo
	v_mov_b32_e32 v8, v3
	v_or_b32_e32 v9, s43, v10
	v_cmp_ne_u64_e32 vcc_lo, 0, v[8:9]
                                        ; implicit-def: $vgpr8_vgpr9
	s_and_saveexec_b32 s16, vcc_lo
	s_xor_b32 s20, exec_lo, s16
	s_cbranch_execz .LBB2_50
; %bb.49:                               ;   in Loop: Header=BB2_47 Depth=1
	s_add_u32 s18, s41, s24
	s_mov_b32 s25, s24
	s_addc_u32 s19, s43, s24
	v_ashrrev_i32_e32 v50, 31, v10
	s_xor_b64 s[18:19], s[18:19], s[24:25]
	v_cvt_f32_u32_e32 v8, s18
	v_cvt_f32_u32_e32 v9, s19
	s_sub_u32 s16, 0, s18
	s_subb_u32 s26, 0, s19
	v_add_co_u32 v2, vcc_lo, v2, v50
	v_fmac_f32_e32 v8, 0x4f800000, v9
	v_xor_b32_e32 v2, v2, v50
	v_rcp_f32_e32 v8, v8
	v_mul_f32_e32 v8, 0x5f7ffffc, v8
	v_mul_f32_e32 v9, 0x2f800000, v8
	v_trunc_f32_e32 v9, v9
	v_fmac_f32_e32 v8, 0xcf800000, v9
	v_cvt_u32_f32_e32 v9, v9
	v_cvt_u32_f32_e32 v8, v8
	v_readfirstlane_b32 s22, v9
	v_readfirstlane_b32 s25, v8
	s_mul_i32 s27, s16, s22
	v_add_co_ci_u32_e64 v8, null, v10, v50, vcc_lo
	s_mul_hi_u32 s29, s16, s25
	s_mul_i32 s28, s26, s25
	s_add_i32 s27, s29, s27
	s_mul_i32 s75, s16, s25
	s_add_i32 s27, s27, s28
	s_mul_hi_u32 s29, s25, s75
	s_mul_i32 s77, s25, s27
	s_mul_hi_u32 s76, s22, s75
	s_mul_i32 s28, s22, s75
	s_mul_hi_u32 s75, s25, s27
	s_add_u32 s29, s29, s77
	s_addc_u32 s75, 0, s75
	s_mul_hi_u32 s78, s22, s27
	s_add_u32 s28, s29, s28
	s_mul_i32 s27, s22, s27
	s_addc_u32 s28, s75, s76
	s_addc_u32 s29, s78, 0
	s_add_u32 s27, s28, s27
	s_addc_u32 s28, 0, s29
	s_add_u32 s25, s25, s27
	s_cselect_b32 s27, -1, 0
	s_mul_hi_u32 s29, s16, s25
	s_cmp_lg_u32 s27, 0
	s_mul_i32 s27, s16, s25
	s_addc_u32 s22, s22, s28
	s_mul_i32 s26, s26, s25
	s_mul_i32 s16, s16, s22
	s_mul_hi_u32 s28, s25, s27
	s_add_i32 s16, s29, s16
	s_mul_hi_u32 s29, s22, s27
	s_add_i32 s16, s16, s26
	s_mul_i32 s26, s22, s27
	s_mul_i32 s76, s25, s16
	s_mul_hi_u32 s75, s25, s16
	s_add_u32 s28, s28, s76
	s_addc_u32 s75, 0, s75
	s_mul_hi_u32 s27, s22, s16
	s_add_u32 s26, s28, s26
	s_mul_i32 s16, s22, s16
	s_addc_u32 s26, s75, s29
	s_addc_u32 s27, s27, 0
	s_add_u32 s16, s26, s16
	s_addc_u32 s26, 0, s27
	s_add_u32 s16, s25, s16
	s_cselect_b32 s25, -1, 0
	v_xor_b32_e32 v51, v8, v50
	s_cmp_lg_u32 s25, 0
	v_mul_hi_u32 v52, v2, s16
	s_addc_u32 s22, s22, s26
	v_mad_u64_u32 v[8:9], null, v2, s22, 0
	v_mad_u64_u32 v[10:11], null, v51, s16, 0
	;; [unrolled: 1-line block ×3, first 2 shown]
	v_add_co_u32 v8, vcc_lo, v52, v8
	v_add_co_ci_u32_e64 v9, null, 0, v9, vcc_lo
	v_add_co_u32 v8, vcc_lo, v8, v10
	v_add_co_ci_u32_e32 v8, vcc_lo, v9, v11, vcc_lo
	v_add_co_ci_u32_e32 v9, vcc_lo, 0, v37, vcc_lo
	v_add_co_u32 v10, vcc_lo, v8, v36
	v_add_co_ci_u32_e64 v11, null, 0, v9, vcc_lo
	v_mul_lo_u32 v36, s19, v10
	v_mad_u64_u32 v[8:9], null, s18, v10, 0
	v_mul_lo_u32 v37, s18, v11
	v_sub_co_u32 v2, vcc_lo, v2, v8
	v_add3_u32 v9, v9, v37, v36
	v_sub_nc_u32_e32 v36, v51, v9
	v_sub_co_ci_u32_e64 v9, null, v51, v9, vcc_lo
	v_subrev_co_ci_u32_e64 v8, null, s19, v36, vcc_lo
	v_add_co_u32 v36, s16, v10, 2
	v_add_co_ci_u32_e64 v37, null, 0, v11, s16
	v_sub_co_u32 v52, s16, v2, s18
	v_subrev_co_ci_u32_e64 v8, null, 0, v8, s16
	v_cmp_le_u32_e32 vcc_lo, s18, v52
	v_cndmask_b32_e64 v51, 0, -1, vcc_lo
	v_cmp_le_u32_e32 vcc_lo, s19, v8
	v_cndmask_b32_e64 v52, 0, -1, vcc_lo
	;; [unrolled: 2-line block ×4, first 2 shown]
	v_cmp_eq_u32_e32 vcc_lo, s19, v8
	v_cndmask_b32_e32 v8, v52, v51, vcc_lo
	v_add_co_u32 v51, vcc_lo, v10, 1
	v_add_co_ci_u32_e64 v52, null, 0, v11, vcc_lo
	v_cmp_eq_u32_e32 vcc_lo, s19, v9
	v_xor_b32_e32 v9, s24, v50
	v_cndmask_b32_e32 v2, v53, v2, vcc_lo
	v_cmp_ne_u32_e32 vcc_lo, 0, v8
	v_cmp_ne_u32_e64 s16, 0, v2
	v_cndmask_b32_e32 v2, v51, v36, vcc_lo
	v_cndmask_b32_e32 v8, v52, v37, vcc_lo
	v_cndmask_b32_e64 v2, v10, v2, s16
	v_cndmask_b32_e64 v8, v11, v8, s16
	v_xor_b32_e32 v2, v2, v9
	v_xor_b32_e32 v10, v8, v9
	v_sub_co_u32 v8, vcc_lo, v2, v9
	v_sub_co_ci_u32_e64 v9, null, v10, v9, vcc_lo
                                        ; implicit-def: $vgpr2
.LBB2_50:                               ;   in Loop: Header=BB2_47 Depth=1
	s_andn2_saveexec_b32 s16, s20
	s_cbranch_execz .LBB2_52
; %bb.51:                               ;   in Loop: Header=BB2_47 Depth=1
	v_cvt_f32_u32_e32 v8, s41
	v_rcp_iflag_f32_e32 v8, v8
	v_mul_f32_e32 v8, 0x4f7ffffe, v8
	v_cvt_u32_f32_e32 v8, v8
	v_mul_lo_u32 v9, s72, v8
	v_mul_hi_u32 v9, v8, v9
	v_add_nc_u32_e32 v8, v8, v9
	v_mul_hi_u32 v8, v2, v8
	v_mul_lo_u32 v9, v8, s41
	v_sub_nc_u32_e32 v2, v2, v9
	v_add_nc_u32_e32 v9, 1, v8
	v_subrev_nc_u32_e32 v10, s41, v2
	v_cmp_le_u32_e32 vcc_lo, s41, v2
	v_cndmask_b32_e32 v2, v2, v10, vcc_lo
	v_cndmask_b32_e32 v8, v8, v9, vcc_lo
	v_cmp_le_u32_e32 vcc_lo, s41, v2
	v_add_nc_u32_e32 v9, 1, v8
	v_cndmask_b32_e32 v2, v8, v9, vcc_lo
	v_mov_b32_e32 v9, v3
	v_mov_b32_e32 v8, v2
.LBB2_52:                               ;   in Loop: Header=BB2_47 Depth=1
	s_or_b32 exec_lo, exec_lo, s16
	v_add_co_u32 v2, vcc_lo, v8, 1
	v_add_co_ci_u32_e64 v37, null, 0, v9, vcc_lo
	v_and_b32_e32 v36, -2, v2
.LBB2_53:                               ;   in Loop: Header=BB2_47 Depth=1
	s_or_b32 exec_lo, exec_lo, s17
	v_mul_lo_u32 v2, v37, s56
	v_mul_lo_u32 v8, v36, s57
	v_mad_u64_u32 v[52:53], null, v36, s56, 0
	v_mov_b32_e32 v10, 0
	v_add3_u32 v53, v53, v8, v2
	v_sub_co_u32 v8, vcc_lo, v48, v52
	v_sub_co_ci_u32_e64 v9, null, v49, v53, vcc_lo
	v_cmp_lt_i64_e32 vcc_lo, v[36:37], v[8:9]
	v_cndmask_b32_e32 v8, v8, v36, vcc_lo
	v_add_co_u32 v50, vcc_lo, v28, v14
	v_add_co_ci_u32_e64 v51, null, v29, v15, vcc_lo
	v_max_i32_e32 v68, 0, v8
	v_cmp_lt_i32_e32 vcc_lo, 0, v8
	v_add_nc_u32_e32 v2, 31, v68
	s_and_b32 s16, s62, vcc_lo
	v_lshrrev_b32_e32 v2, 1, v2
	v_and_b32_e32 v9, 0x3ffffff0, v2
	v_mov_b32_e32 v2, 0
	v_max_i32_e32 v8, s58, v9
	s_and_saveexec_b32 s18, s16
	s_cbranch_execz .LBB2_197
; %bb.54:                               ;   in Loop: Header=BB2_47 Depth=1
	v_lshlrev_b64 v[52:53], 3, v[52:53]
	v_mov_b32_e32 v10, 0
	s_mov_b32 s22, 1
	s_mov_b32 s20, -1
	s_mov_b32 s19, 0
	s_branch .LBB2_57
.LBB2_55:                               ;   in Loop: Header=BB2_57 Depth=2
	s_or_b32 exec_lo, exec_lo, s17
	v_add_co_u32 v38, vcc_lo, v38, 2
	v_add_co_ci_u32_e64 v39, null, 0, v39, vcc_lo
	s_waitcnt vmcnt(0) lgkmcnt(0)
	s_waitcnt_vscnt null, 0x0
	flat_store_dwordx2 v[20:21], v[38:39]
.LBB2_56:                               ;   in Loop: Header=BB2_57 Depth=2
	s_or_b32 exec_lo, exec_lo, s16
	v_add_nc_u32_e32 v10, v8, v10
	s_xor_b32 s16, s20, -1
	v_mov_b32_e32 v2, s22
	s_mov_b32 s20, 0
	s_mov_b32 s22, 2
	v_cmp_ge_i32_e32 vcc_lo, v10, v68
	s_or_b32 s16, s16, vcc_lo
	s_and_b32 s16, exec_lo, s16
	s_or_b32 s19, s16, s19
	s_andn2_b32 exec_lo, exec_lo, s19
	s_cbranch_execz .LBB2_196
.LBB2_57:                               ;   Parent Loop BB2_47 Depth=1
                                        ; =>  This Loop Header: Depth=2
                                        ;       Child Loop BB2_65 Depth 3
                                        ;       Child Loop BB2_89 Depth 3
	;; [unrolled: 1-line block ×9, first 2 shown]
	s_and_saveexec_b32 s16, s4
	s_cbranch_execz .LBB2_59
; %bb.58:                               ;   in Loop: Header=BB2_57 Depth=2
	s_trap 2
	ds_read_b64 v[54:55], v0
	v_lshlrev_b64 v[64:65], 3, v[50:51]
	v_ashrrev_i32_e32 v11, 31, v10
	s_waitcnt lgkmcnt(0)
	v_add_co_u32 v2, vcc_lo, v54, v64
	v_add_co_ci_u32_e64 v9, null, v55, v65, vcc_lo
	v_lshlrev_b64 v[54:55], 3, v[10:11]
	v_add_co_u32 v2, vcc_lo, v2, v52
	v_add_co_ci_u32_e64 v9, null, v9, v53, vcc_lo
	v_add_co_u32 v54, vcc_lo, v2, v54
	v_add_co_ci_u32_e64 v55, null, v9, v55, vcc_lo
	v_mov_b32_e32 v2, v3
	ds_write_b64 v0, v[54:55]
	ds_write_b64 v0, v[2:3]
.LBB2_59:                               ;   in Loop: Header=BB2_57 Depth=2
	s_or_b32 exec_lo, exec_lo, s16
	v_sub_nc_u32_e32 v2, v68, v10
	v_and_b32_e32 v9, 8, v87
	s_mov_b32 s17, exec_lo
	v_min_i32_e32 v8, v8, v2
	v_cmpx_ne_u32_e32 0, v9
	s_cbranch_execz .LBB2_81
; %bb.60:                               ;   in Loop: Header=BB2_57 Depth=2
	s_waitcnt vmcnt(0) lgkmcnt(1)
	v_add_co_u32 v64, vcc_lo, v26, 8
	v_add_co_ci_u32_e64 v65, null, 0, v27, vcc_lo
	v_add_co_u32 v54, vcc_lo, v38, 2
	v_add_co_ci_u32_e64 v55, null, 0, v39, vcc_lo
	s_mov_b32 s25, exec_lo
	v_cmpx_lt_u64_e64 v[64:65], v[54:55]
	s_cbranch_execz .LBB2_72
; %bb.61:                               ;   in Loop: Header=BB2_57 Depth=2
	v_and_b32_e32 v2, 64, v87
	s_mov_b32 s26, 0
	s_mov_b32 s75, 0
                                        ; implicit-def: $sgpr27
                                        ; implicit-def: $sgpr28
                                        ; implicit-def: $sgpr29
	v_cmp_eq_u32_e32 vcc_lo, 0, v2
	s_branch .LBB2_65
.LBB2_62:                               ;   in Loop: Header=BB2_65 Depth=3
	s_waitcnt vmcnt(0) lgkmcnt(0)
	v_add_co_u32 v64, s16, v26, 8
	v_add_co_ci_u32_e64 v65, null, 0, v27, s16
	s_or_b32 s78, s78, exec_lo
	v_cmp_ge_u64_e64 s16, v[64:65], v[54:55]
	s_orn2_b32 s77, s16, exec_lo
.LBB2_63:                               ;   in Loop: Header=BB2_65 Depth=3
	s_or_b32 exec_lo, exec_lo, s88
	s_andn2_b32 s16, s29, exec_lo
	s_and_b32 s29, s78, exec_lo
	s_andn2_b32 s28, s28, exec_lo
	s_and_b32 s77, s77, exec_lo
	s_or_b32 s29, s16, s29
	s_or_b32 s28, s28, s77
.LBB2_64:                               ;   in Loop: Header=BB2_65 Depth=3
	s_or_b32 exec_lo, exec_lo, s76
	s_and_b32 s16, exec_lo, s28
	s_or_b32 s26, s16, s26
	s_andn2_b32 s16, s27, exec_lo
	s_and_b32 s27, s29, exec_lo
	s_or_b32 s27, s16, s27
	s_andn2_b32 exec_lo, exec_lo, s26
	s_cbranch_execz .LBB2_69
.LBB2_65:                               ;   Parent Loop BB2_47 Depth=1
                                        ;     Parent Loop BB2_57 Depth=2
                                        ; =>    This Inner Loop Header: Depth=3
	s_sleep 1
	s_waitcnt vmcnt(0) lgkmcnt(0)
	flat_load_dwordx2 v[26:27], v[20:21] glc dlc
	s_or_b32 s29, s29, exec_lo
	s_or_b32 s28, s28, exec_lo
                                        ; implicit-def: $vgpr2
	s_and_saveexec_b32 s76, vcc_lo
	s_cbranch_execz .LBB2_64
; %bb.66:                               ;   in Loop: Header=BB2_65 Depth=3
	s_cmpk_lt_i32 s75, 0x270f
	s_mov_b32 s77, -1
	s_cselect_b32 s79, -1, 0
	s_cmpk_gt_i32 s75, 0x270e
	s_cbranch_scc0 .LBB2_68
; %bb.67:                               ;   in Loop: Header=BB2_65 Depth=3
	s_trap 2
	ds_read_b64 v[64:65], v0
	s_andn2_b32 s75, s79, exec_lo
	s_mov_b32 s78, 0
	s_waitcnt vmcnt(0) lgkmcnt(0)
	s_waitcnt_vscnt null, 0x0
	flat_load_dword v2, v[64:65] glc dlc
	s_waitcnt vmcnt(0) lgkmcnt(0)
	buffer_gl1_inv
	buffer_gl0_inv
	v_cmp_eq_u32_e64 s16, 0, v2
	s_and_b32 s16, s16, exec_lo
	s_or_b32 s79, s75, s16
	s_mov_b32 s75, 0
	s_and_saveexec_b32 s88, s79
	s_cbranch_execz .LBB2_63
	s_branch .LBB2_62
.LBB2_68:                               ;   in Loop: Header=BB2_65 Depth=3
	s_add_i32 s75, s75, 1
	s_mov_b32 s78, -1
                                        ; implicit-def: $vgpr2
	s_and_saveexec_b32 s88, s79
	s_cbranch_execz .LBB2_63
	s_branch .LBB2_62
.LBB2_69:                               ;   in Loop: Header=BB2_57 Depth=2
	s_or_b32 exec_lo, exec_lo, s26
	s_xor_b32 s16, s27, -1
	s_and_saveexec_b32 s26, s16
	s_xor_b32 s16, exec_lo, s26
	s_cbranch_execz .LBB2_71
; %bb.70:                               ;   in Loop: Header=BB2_57 Depth=2
	v_or_b32_e32 v87, 64, v87
	s_waitcnt vmcnt(0) lgkmcnt(0)
	s_waitcnt_vscnt null, 0x0
	ds_write_b32 v0, v2
	s_trap 2
.LBB2_71:                               ;   in Loop: Header=BB2_57 Depth=2
	s_or_b32 exec_lo, exec_lo, s16
.LBB2_72:                               ;   in Loop: Header=BB2_57 Depth=2
	s_or_b32 exec_lo, exec_lo, s25
	v_and_b32_e32 v2, 0x100, v87
	s_mov_b32 s25, 0
	;;#ASMSTART
	s_wakeup
	;;#ASMEND
	v_cmp_ne_u32_e32 vcc_lo, 0, v2
	v_and_b32_e32 v2, 7, v38
                                        ; implicit-def: $vgpr38_vgpr39
	s_and_saveexec_b32 s16, vcc_lo
	s_xor_b32 s16, exec_lo, s16
	s_cbranch_execz .LBB2_93
; %bb.73:                               ;   in Loop: Header=BB2_57 Depth=2
	v_mad_u64_u32 v[64:65], null, v2, 24, v[6:7]
	v_ashrrev_i32_e32 v9, 31, v8
	s_mov_b32 s25, -1
	s_mov_b32 s26, exec_lo
	v_lshlrev_b64 v[38:39], 3, v[8:9]
	flat_load_dword v11, v[64:65]
	flat_store_dwordx2 v[64:65], v[38:39] offset:8
                                        ; implicit-def: $vgpr38_vgpr39
	s_waitcnt vmcnt(0) lgkmcnt(1)
	v_cmpx_eq_u32_e32 1, v11
	s_cbranch_execz .LBB2_75
; %bb.74:                               ;   in Loop: Header=BB2_57 Depth=2
	flat_load_dword v38, v[64:65] offset:4 glc dlc
	s_xor_b32 s25, exec_lo, -1
	s_waitcnt vmcnt(0) lgkmcnt(0)
	v_ashrrev_i32_e32 v39, 31, v38
	v_lshrrev_b64 v[38:39], 3, v[38:39]
.LBB2_75:                               ;   in Loop: Header=BB2_57 Depth=2
	s_or_b32 exec_lo, exec_lo, s26
	s_and_b32 s25, s25, exec_lo
	s_andn2_saveexec_b32 s16, s16
	s_cbranch_execnz .LBB2_94
.LBB2_76:                               ;   in Loop: Header=BB2_57 Depth=2
	s_or_b32 exec_lo, exec_lo, s16
	s_and_saveexec_b32 s16, s25
.LBB2_77:                               ;   in Loop: Header=BB2_57 Depth=2
	v_mul_lo_u32 v9, v3, v96
	v_mul_lo_u32 v11, v2, v30
	v_mad_u64_u32 v[38:39], null, v2, v96, 0
	v_add3_u32 v39, v39, v11, v9
.LBB2_78:                               ;   in Loop: Header=BB2_57 Depth=2
	s_or_b32 exec_lo, exec_lo, s16
	v_lshlrev_b64 v[38:39], 3, v[38:39]
	v_and_b32_e32 v2, 0x2000, v87
	s_mov_b32 s16, exec_lo
	v_add_co_u32 v38, vcc_lo, v22, v38
	v_add_co_ci_u32_e64 v39, null, v23, v39, vcc_lo
	ds_write_b64 v0, v[38:39] offset:784
	v_cmpx_ne_u32_e32 0, v2
	s_cbranch_execz .LBB2_80
; %bb.79:                               ;   in Loop: Header=BB2_57 Depth=2
	ds_read_b64 v[38:39], v0 offset:872
	s_waitcnt lgkmcnt(0)
	v_add_co_u32 v38, vcc_lo, v38, 1
	v_add_co_ci_u32_e64 v39, null, 0, v39, vcc_lo
	ds_write_b64 v0, v[38:39] offset:872
.LBB2_80:                               ;   in Loop: Header=BB2_57 Depth=2
	s_or_b32 exec_lo, exec_lo, s16
	v_mov_b32_e32 v38, v54
	v_mov_b32_e32 v39, v55
.LBB2_81:                               ;   in Loop: Header=BB2_57 Depth=2
	s_or_b32 exec_lo, exec_lo, s17
	s_and_saveexec_b32 s16, s6
	s_cbranch_execz .LBB2_102
; %bb.82:                               ;   in Loop: Header=BB2_57 Depth=2
	s_and_saveexec_b32 s17, s44
	s_xor_b32 s17, exec_lo, s17
	s_cbranch_execz .LBB2_99
; %bb.83:                               ;   in Loop: Header=BB2_57 Depth=2
	s_and_saveexec_b32 s25, s11
	s_cbranch_execz .LBB2_98
; %bb.84:                               ;   in Loop: Header=BB2_57 Depth=2
	s_mov_b32 s27, exec_lo
	s_mov_b32 s26, exec_lo
	v_mbcnt_lo_u32_b32 v2, s27, 0
	s_waitcnt vmcnt(0) lgkmcnt(0)
	s_waitcnt_vscnt null, 0x0
	buffer_gl1_inv
	buffer_gl0_inv
	v_cmpx_eq_u32_e32 0, v2
	s_cbranch_execz .LBB2_86
; %bb.85:                               ;   in Loop: Header=BB2_57 Depth=2
	s_bcnt1_i32_b32 s27, s27
	v_mov_b32_e32 v2, s27
	ds_add_u64 v0, v[2:3]
	s_trap 2
.LBB2_86:                               ;   in Loop: Header=BB2_57 Depth=2
	s_or_b32 exec_lo, exec_lo, s26
	s_trap 2
	ds_read_b64 v[54:55], v0
	s_waitcnt lgkmcnt(0)
	buffer_gl0_inv
	v_add_co_u32 v12, vcc_lo, v12, v97
	v_add_co_ci_u32_e64 v13, null, 0, v13, vcc_lo
	s_mov_b32 s26, exec_lo
	v_cmpx_lt_u64_e64 v[54:55], v[12:13]
	s_cbranch_execz .LBB2_97
; %bb.87:                               ;   in Loop: Header=BB2_57 Depth=2
	s_mov_b32 s27, 0
	s_mov_b32 s75, 0
                                        ; implicit-def: $sgpr28
                                        ; implicit-def: $sgpr29
	s_inst_prefetch 0x1
	s_branch .LBB2_89
	.p2align	6
.LBB2_88:                               ;   in Loop: Header=BB2_89 Depth=3
	s_or_b32 exec_lo, exec_lo, s77
	s_and_b32 s76, exec_lo, s78
	s_or_b32 s27, s76, s27
	s_andn2_b32 s28, s28, exec_lo
	s_and_b32 s76, s29, exec_lo
	s_or_b32 s28, s28, s76
	s_andn2_b32 exec_lo, exec_lo, s27
	s_cbranch_execz .LBB2_95
.LBB2_89:                               ;   Parent Loop BB2_47 Depth=1
                                        ;     Parent Loop BB2_57 Depth=2
                                        ; =>    This Inner Loop Header: Depth=3
	s_add_i32 s75, s75, 1
	s_cmpk_lg_i32 s75, 0x2710
	s_cselect_b32 s76, -1, 0
	s_and_b32 vcc_lo, exec_lo, s76
	s_cbranch_vccz .LBB2_91
; %bb.90:                               ;   in Loop: Header=BB2_89 Depth=3
	s_mov_b32 s78, -1
	s_or_b32 s29, s29, exec_lo
	s_and_saveexec_b32 s77, s76
	s_cbranch_execz .LBB2_88
	s_branch .LBB2_92
	.p2align	6
.LBB2_91:                               ;   in Loop: Header=BB2_89 Depth=3
	s_trap 2
	ds_read_b64 v[54:55], v0
	s_andn2_b32 s76, s76, exec_lo
	s_mov_b32 s75, 0
	s_waitcnt lgkmcnt(0)
	flat_load_dword v2, v[54:55] glc dlc
	s_waitcnt vmcnt(0) lgkmcnt(0)
	buffer_gl1_inv
	buffer_gl0_inv
	v_cmp_eq_u32_e32 vcc_lo, 0, v2
	s_and_b32 s77, vcc_lo, exec_lo
	s_or_b32 s76, s76, s77
	s_mov_b32 s78, -1
	s_or_b32 s29, s29, exec_lo
	s_and_saveexec_b32 s77, s76
	s_cbranch_execz .LBB2_88
.LBB2_92:                               ;   in Loop: Header=BB2_89 Depth=3
	s_sleep 1
	s_trap 2
	ds_read_b64 v[54:55], v0
	s_waitcnt lgkmcnt(0)
	buffer_gl0_inv
	s_andn2_b32 s29, s29, exec_lo
	v_cmp_ge_u64_e32 vcc_lo, v[54:55], v[12:13]
	s_orn2_b32 s78, vcc_lo, exec_lo
	s_branch .LBB2_88
.LBB2_93:                               ;   in Loop: Header=BB2_57 Depth=2
	s_andn2_saveexec_b32 s16, s16
	s_cbranch_execz .LBB2_76
.LBB2_94:                               ;   in Loop: Header=BB2_57 Depth=2
	s_or_b32 s25, s25, exec_lo
	s_or_b32 exec_lo, exec_lo, s16
	s_and_saveexec_b32 s16, s25
	s_cbranch_execnz .LBB2_77
	s_branch .LBB2_78
.LBB2_95:                               ;   in Loop: Header=BB2_57 Depth=2
	s_inst_prefetch 0x2
	s_or_b32 exec_lo, exec_lo, s27
	s_and_saveexec_b32 s27, s28
	s_xor_b32 s27, exec_lo, s27
	s_cbranch_execz .LBB2_97
; %bb.96:                               ;   in Loop: Header=BB2_57 Depth=2
	ds_write_b32 v0, v101
	s_trap 2
.LBB2_97:                               ;   in Loop: Header=BB2_57 Depth=2
	s_or_b32 exec_lo, exec_lo, s26
	;;#ASMSTART
	s_wakeup
	;;#ASMEND
.LBB2_98:                               ;   in Loop: Header=BB2_57 Depth=2
	s_or_b32 exec_lo, exec_lo, s25
.LBB2_99:                               ;   in Loop: Header=BB2_57 Depth=2
	s_andn2_saveexec_b32 s17, s17
	s_cbranch_execz .LBB2_101
; %bb.100:                              ;   in Loop: Header=BB2_57 Depth=2
	s_waitcnt vmcnt(0) lgkmcnt(0)
	s_waitcnt_vscnt null, 0x0
	buffer_gl1_inv
	buffer_gl0_inv
	s_barrier
.LBB2_101:                              ;   in Loop: Header=BB2_57 Depth=2
	s_or_b32 exec_lo, exec_lo, s17
.LBB2_102:                              ;   in Loop: Header=BB2_57 Depth=2
	s_or_b32 exec_lo, exec_lo, s16
	s_trap 2
	ds_read_b32 v9, v0
	v_and_b32_e32 v2, 0x4000, v87
	s_xor_b32 s16, s5, -1
	v_cmp_ne_u32_e32 vcc_lo, 0, v2
	s_and_b32 s17, s16, vcc_lo
	s_and_saveexec_b32 s16, s17
	s_cbranch_execz .LBB2_121
; %bb.103:                              ;   in Loop: Header=BB2_57 Depth=2
	s_and_saveexec_b32 s17, s44
	s_xor_b32 s17, exec_lo, s17
	s_cbranch_execz .LBB2_118
; %bb.104:                              ;   in Loop: Header=BB2_57 Depth=2
	s_and_saveexec_b32 s25, s11
	s_cbranch_execz .LBB2_117
; %bb.105:                              ;   in Loop: Header=BB2_57 Depth=2
	s_mov_b32 s27, exec_lo
	s_mov_b32 s26, exec_lo
	v_mbcnt_lo_u32_b32 v2, s27, 0
	s_waitcnt vmcnt(0) lgkmcnt(0)
	s_waitcnt_vscnt null, 0x0
	buffer_gl1_inv
	buffer_gl0_inv
	v_cmpx_eq_u32_e32 0, v2
	s_cbranch_execz .LBB2_107
; %bb.106:                              ;   in Loop: Header=BB2_57 Depth=2
	s_bcnt1_i32_b32 s27, s27
	v_mov_b32_e32 v2, s27
	ds_add_u64 v0, v[2:3]
	s_trap 2
.LBB2_107:                              ;   in Loop: Header=BB2_57 Depth=2
	s_or_b32 exec_lo, exec_lo, s26
	s_trap 2
	ds_read_b64 v[54:55], v0
	s_waitcnt lgkmcnt(0)
	buffer_gl0_inv
	v_add_co_u32 v12, vcc_lo, v12, v97
	v_add_co_ci_u32_e64 v13, null, 0, v13, vcc_lo
	s_mov_b32 s26, exec_lo
	v_cmpx_lt_u64_e64 v[54:55], v[12:13]
	s_cbranch_execz .LBB2_116
; %bb.108:                              ;   in Loop: Header=BB2_57 Depth=2
	s_mov_b32 s27, 0
	s_mov_b32 s75, 0
                                        ; implicit-def: $sgpr28
                                        ; implicit-def: $sgpr29
	s_inst_prefetch 0x1
	s_branch .LBB2_110
	.p2align	6
.LBB2_109:                              ;   in Loop: Header=BB2_110 Depth=3
	s_or_b32 exec_lo, exec_lo, s77
	s_and_b32 s76, exec_lo, s78
	s_or_b32 s27, s76, s27
	s_andn2_b32 s28, s28, exec_lo
	s_and_b32 s76, s29, exec_lo
	s_or_b32 s28, s28, s76
	s_andn2_b32 exec_lo, exec_lo, s27
	s_cbranch_execz .LBB2_114
.LBB2_110:                              ;   Parent Loop BB2_47 Depth=1
                                        ;     Parent Loop BB2_57 Depth=2
                                        ; =>    This Inner Loop Header: Depth=3
	s_add_i32 s75, s75, 1
	s_cmpk_lg_i32 s75, 0x2710
	s_cselect_b32 s76, -1, 0
	s_and_b32 vcc_lo, exec_lo, s76
	s_cbranch_vccz .LBB2_112
; %bb.111:                              ;   in Loop: Header=BB2_110 Depth=3
	s_mov_b32 s78, -1
	s_or_b32 s29, s29, exec_lo
	s_and_saveexec_b32 s77, s76
	s_cbranch_execz .LBB2_109
	s_branch .LBB2_113
	.p2align	6
.LBB2_112:                              ;   in Loop: Header=BB2_110 Depth=3
	s_trap 2
	ds_read_b64 v[54:55], v0
	s_andn2_b32 s76, s76, exec_lo
	s_mov_b32 s75, 0
	s_waitcnt lgkmcnt(0)
	flat_load_dword v2, v[54:55] glc dlc
	s_waitcnt vmcnt(0) lgkmcnt(0)
	buffer_gl1_inv
	buffer_gl0_inv
	v_cmp_eq_u32_e32 vcc_lo, 0, v2
	s_and_b32 s77, vcc_lo, exec_lo
	s_or_b32 s76, s76, s77
	s_mov_b32 s78, -1
	s_or_b32 s29, s29, exec_lo
	s_and_saveexec_b32 s77, s76
	s_cbranch_execz .LBB2_109
.LBB2_113:                              ;   in Loop: Header=BB2_110 Depth=3
	s_sleep 1
	s_trap 2
	ds_read_b64 v[54:55], v0
	s_waitcnt lgkmcnt(0)
	buffer_gl0_inv
	s_andn2_b32 s29, s29, exec_lo
	v_cmp_ge_u64_e32 vcc_lo, v[54:55], v[12:13]
	s_orn2_b32 s78, vcc_lo, exec_lo
	s_branch .LBB2_109
.LBB2_114:                              ;   in Loop: Header=BB2_57 Depth=2
	s_inst_prefetch 0x2
	s_or_b32 exec_lo, exec_lo, s27
	s_and_saveexec_b32 s27, s28
	s_xor_b32 s27, exec_lo, s27
	s_cbranch_execz .LBB2_116
; %bb.115:                              ;   in Loop: Header=BB2_57 Depth=2
	ds_write_b32 v0, v101
	s_trap 2
.LBB2_116:                              ;   in Loop: Header=BB2_57 Depth=2
	s_or_b32 exec_lo, exec_lo, s26
	;;#ASMSTART
	s_wakeup
	;;#ASMEND
.LBB2_117:                              ;   in Loop: Header=BB2_57 Depth=2
	s_or_b32 exec_lo, exec_lo, s25
.LBB2_118:                              ;   in Loop: Header=BB2_57 Depth=2
	s_andn2_saveexec_b32 s17, s17
	s_cbranch_execz .LBB2_120
; %bb.119:                              ;   in Loop: Header=BB2_57 Depth=2
	s_waitcnt vmcnt(0) lgkmcnt(0)
	s_waitcnt_vscnt null, 0x0
	buffer_gl1_inv
	buffer_gl0_inv
	s_barrier
.LBB2_120:                              ;   in Loop: Header=BB2_57 Depth=2
	s_or_b32 exec_lo, exec_lo, s17
.LBB2_121:                              ;   in Loop: Header=BB2_57 Depth=2
	s_or_b32 exec_lo, exec_lo, s16
	s_trap 2
	ds_read_b64 v[54:55], v0
	s_waitcnt lgkmcnt(0)
	v_cmp_eq_u64_e32 vcc_lo, 0, v[54:55]
	s_cbranch_vccnz .LBB2_129
; %bb.122:                              ;   in Loop: Header=BB2_57 Depth=2
	s_trap 2
	ds_read_b64 v[64:65], v0
	s_waitcnt lgkmcnt(0)
	v_cmp_eq_u64_e32 vcc_lo, 0, v[64:65]
	s_cbranch_vccnz .LBB2_129
; %bb.123:                              ;   in Loop: Header=BB2_57 Depth=2
	s_mov_b32 s16, -1
	s_and_saveexec_b32 s17, s12
	s_cbranch_execz .LBB2_125
; %bb.124:                              ;   in Loop: Header=BB2_57 Depth=2
	ds_read_b32 v2, v0 offset:720
	s_waitcnt lgkmcnt(0)
	v_and_b32_e32 v2, 15, v2
	v_cmp_eq_u32_e32 vcc_lo, 0, v2
	s_orn2_b32 s16, vcc_lo, exec_lo
.LBB2_125:                              ;   in Loop: Header=BB2_57 Depth=2
	s_or_b32 exec_lo, exec_lo, s17
	s_and_saveexec_b32 s17, s13
	s_cbranch_execz .LBB2_127
; %bb.126:                              ;   in Loop: Header=BB2_57 Depth=2
	ds_read_b32 v2, v0 offset:784
	s_waitcnt lgkmcnt(0)
	v_and_b32_e32 v2, 15, v2
	v_cmp_eq_u32_e32 vcc_lo, 0, v2
	s_and_b32 s25, s16, vcc_lo
	s_andn2_b32 s16, s16, exec_lo
	s_and_b32 s25, s25, exec_lo
	s_or_b32 s16, s16, s25
.LBB2_127:                              ;   in Loop: Header=BB2_57 Depth=2
	s_or_b32 exec_lo, exec_lo, s17
	v_cmp_eq_u32_e32 vcc_lo, 0, v9
	s_xor_b32 s16, s16, -1
	v_cndmask_b32_e64 v11, 0, 1, s16
	s_mov_b32 s16, -1
	v_cndmask_b32_e32 v2, 0, v8, vcc_lo
	v_cmp_ne_u32_e32 vcc_lo, 0, v11
	v_mov_b32_e32 v11, 0
	v_lshlrev_b32_e32 v9, 3, v2
	s_cbranch_vccz .LBB2_134
; %bb.128:                              ;   in Loop: Header=BB2_57 Depth=2
	v_mov_b32_e32 v81, v0
	v_mov_b32_e32 v66, v98
	s_and_saveexec_b32 s25, s16
	s_cbranch_execnz .LBB2_147
	s_branch .LBB2_155
.LBB2_129:                              ;   in Loop: Header=BB2_57 Depth=2
	s_mov_b32 s16, 0
	s_and_saveexec_b32 s17, s6
	s_cbranch_execnz .LBB2_156
.LBB2_130:                              ;   in Loop: Header=BB2_57 Depth=2
	s_or_b32 exec_lo, exec_lo, s17
                                        ; implicit-def: $vgpr2
	s_and_saveexec_b32 s17, s15
	s_xor_b32 s17, exec_lo, s17
	s_cbranch_execz .LBB2_174
.LBB2_131:                              ;   in Loop: Header=BB2_57 Depth=2
	v_and_b32_e32 v2, 16, v87
	v_cmp_ne_u32_e32 vcc_lo, 0, v2
	v_and_b32_e32 v2, 16, v87
	s_and_b32 s25, vcc_lo, s16
	s_and_saveexec_b32 s16, s25
	s_cbranch_execz .LBB2_133
; %bb.132:                              ;   in Loop: Header=BB2_57 Depth=2
	v_mov_b32_e32 v2, 1
	s_waitcnt vmcnt(0) lgkmcnt(0)
	s_waitcnt_vscnt null, 0x0
	buffer_gl1_inv
	buffer_gl0_inv
.LBB2_133:                              ;   in Loop: Header=BB2_57 Depth=2
	s_or_b32 exec_lo, exec_lo, s16
	s_andn2_saveexec_b32 s16, s17
	s_cbranch_execz .LBB2_193
	s_branch .LBB2_175
.LBB2_134:                              ;   in Loop: Header=BB2_57 Depth=2
	v_ashrrev_i32_e32 v11, 31, v9
	s_mov_b32 s17, exec_lo
	v_lshrrev_b32_e32 v11, 22, v11
	v_add_nc_u32_e32 v11, v9, v11
	v_ashrrev_i32_e32 v11, 10, v11
	v_sub_nc_u32_e32 v69, v11, v99
	v_cmpx_lt_i32_e32 0, v69
	s_cbranch_execz .LBB2_138
; %bb.135:                              ;   in Loop: Header=BB2_57 Depth=2
	v_mov_b32_e32 v67, v35
	v_mov_b32_e32 v66, v34
	s_mov_b32 s25, 0
	.p2align	6
.LBB2_136:                              ;   Parent Loop BB2_47 Depth=1
                                        ;     Parent Loop BB2_57 Depth=2
                                        ; =>    This Inner Loop Header: Depth=3
	v_add_co_u32 v70, vcc_lo, v54, v66
	v_add_co_ci_u32_e64 v71, null, v55, v67, vcc_lo
	v_sub_nc_u32_e32 v69, v69, v97
	s_clause 0x1
	global_load_dwordx4 v[80:83], v[70:71], off slc
	global_load_dwordx4 v[56:59], v[70:71], off offset:512 slc
	v_add_co_u32 v70, vcc_lo, v64, v66
	v_add_co_ci_u32_e64 v71, null, v65, v67, vcc_lo
	v_cmp_gt_i32_e32 vcc_lo, 1, v69
	v_add_co_u32 v66, s16, v66, v112
	v_add_co_ci_u32_e64 v67, null, 0, v67, s16
	s_or_b32 s25, vcc_lo, s25
	s_waitcnt vmcnt(1)
	global_store_dwordx4 v[70:71], v[80:83], off glc slc
	s_waitcnt vmcnt(0)
	global_store_dwordx4 v[70:71], v[56:59], off offset:512 glc slc
	s_andn2_b32 exec_lo, exec_lo, s25
	s_cbranch_execnz .LBB2_136
; %bb.137:                              ;   in Loop: Header=BB2_57 Depth=2
	s_or_b32 exec_lo, exec_lo, s25
.LBB2_138:                              ;   in Loop: Header=BB2_57 Depth=2
	s_or_b32 exec_lo, exec_lo, s17
	v_lshlrev_b32_e32 v67, 10, v11
	v_mov_b32_e32 v11, 0
	s_mov_b32 s16, 0
	s_mov_b32 s25, exec_lo
                                        ; implicit-def: $vgpr81
                                        ; implicit-def: $vgpr66
	v_cmpx_ne_u32_e64 v9, v67
	s_cbranch_execz .LBB2_146
; %bb.139:                              ;   in Loop: Header=BB2_57 Depth=2
	v_lshlrev_b32_e32 v11, 5, v69
	v_sub_nc_u32_e32 v80, v9, v67
	s_mov_b32 s26, exec_lo
	v_sub_nc_u32_e32 v11, v98, v11
	v_ashrrev_i32_e32 v69, 31, v80
	v_ashrrev_i32_e32 v66, 31, v11
	v_lshrrev_b32_e32 v69, 23, v69
	v_lshrrev_b32_e32 v66, 27, v66
	v_add_nc_u32_e32 v81, v80, v69
	v_add_nc_u32_e32 v66, v11, v66
	v_and_b32_e32 v69, 0xfffffe00, v81
	v_ashrrev_i32_e32 v81, 9, v81
	v_and_b32_e32 v70, 0xffffffe0, v66
	v_sub_nc_u32_e32 v71, v80, v69
	v_ashrrev_i32_e32 v82, 5, v66
	v_sub_nc_u32_e32 v70, v11, v70
	v_cmp_lt_i32_e32 vcc_lo, 15, v71
	v_lshlrev_b32_e32 v11, 4, v70
	v_add_co_ci_u32_e64 v81, null, 0, v81, vcc_lo
	v_lshl_add_u32 v66, v82, 9, v11
	v_sub_nc_u32_e32 v11, v80, v66
	v_sub_nc_u32_e32 v80, v81, v82
	v_cmpx_lt_i32_e32 15, v11
	s_cbranch_execz .LBB2_143
; %bb.140:                              ;   in Loop: Header=BB2_57 Depth=2
	v_add_nc_u32_e32 v66, v66, v67
	s_mov_b32 s27, 0
	v_ashrrev_i32_e32 v81, 31, v66
	.p2align	6
.LBB2_141:                              ;   Parent Loop BB2_47 Depth=1
                                        ;     Parent Loop BB2_57 Depth=2
                                        ; =>    This Inner Loop Header: Depth=3
	v_add_co_u32 v82, s16, v54, v66
	v_add_co_ci_u32_e64 v83, null, v55, v81, s16
	v_sub_nc_u32_e32 v11, v11, v113
	v_add_co_u32 v56, s16, v64, v66
	global_load_dwordx4 v[82:85], v[82:83], off slc
	v_add_co_ci_u32_e64 v57, null, v65, v81, s16
	v_cmp_gt_i32_e64 s16, 16, v11
	v_add_co_u32 v66, s17, v66, v113
	v_sub_nc_u32_e32 v80, v80, v97
	v_add_co_ci_u32_e64 v81, null, 0, v81, s17
	s_or_b32 s27, s16, s27
	s_waitcnt vmcnt(0)
	global_store_dwordx4 v[56:57], v[82:85], off glc slc
	s_andn2_b32 exec_lo, exec_lo, s27
	s_cbranch_execnz .LBB2_141
; %bb.142:                              ;   in Loop: Header=BB2_57 Depth=2
	s_or_b32 exec_lo, exec_lo, s27
.LBB2_143:                              ;   in Loop: Header=BB2_57 Depth=2
	s_or_b32 exec_lo, exec_lo, s26
	v_and_b32_e32 v82, 8, v9
	v_mov_b32_e32 v11, 0
	s_mov_b32 s17, 0
	s_mov_b32 s26, exec_lo
                                        ; implicit-def: $vgpr81
                                        ; implicit-def: $vgpr66
	v_cndmask_b32_e32 v9, v71, v82, vcc_lo
	v_cmpx_ne_u32_e32 0, v9
	s_cbranch_execz .LBB2_145
; %bb.144:                              ;   in Loop: Header=BB2_57 Depth=2
	v_cmp_lt_i32_e64 s16, 0, v80
	v_sub_nc_u32_e32 v66, v71, v82
	s_mov_b32 s17, exec_lo
	v_cndmask_b32_e64 v11, 0, v97, s16
	v_cndmask_b32_e32 v66, 0, v66, vcc_lo
	v_sub_nc_u32_e32 v11, v11, v80
	v_lshl_add_u32 v81, v11, 5, v70
	v_ashrrev_i32_e32 v11, 31, v81
	v_lshrrev_b32_e32 v11, 27, v11
	v_add_nc_u32_e32 v11, v81, v11
	v_and_b32_e32 v70, 0xffffffe0, v11
	v_add3_u32 v11, v69, v67, v66
	v_sub_nc_u32_e32 v66, v81, v70
.LBB2_145:                              ;   in Loop: Header=BB2_57 Depth=2
	s_or_b32 exec_lo, exec_lo, s26
	s_and_b32 s16, s17, exec_lo
.LBB2_146:                              ;   in Loop: Header=BB2_57 Depth=2
	s_or_b32 exec_lo, exec_lo, s25
	s_and_saveexec_b32 s25, s16
	s_cbranch_execz .LBB2_155
.LBB2_147:                              ;   in Loop: Header=BB2_57 Depth=2
	v_ashrrev_i32_e32 v67, 31, v81
	v_ashrrev_i32_e32 v69, 31, v9
	v_lshlrev_b32_e32 v71, 3, v66
	s_mov_b32 s26, exec_lo
	v_lshrrev_b32_e32 v67, 27, v67
	v_add_nc_u32_sdwa v69, v9, v69 dst_sel:DWORD dst_unused:UNUSED_PAD src0_sel:DWORD src1_sel:BYTE_3
	v_add_nc_u32_e32 v67, v81, v67
	v_ashrrev_i32_e32 v81, 8, v69
	v_ashrrev_i32_e32 v70, 5, v67
	v_and_b32_e32 v67, 0xffffff00, v69
	v_lshl_add_u32 v80, v70, 8, v71
	v_sub_nc_u32_e32 v69, v9, v67
	v_sub_nc_u32_e32 v70, v81, v70
	;; [unrolled: 1-line block ×3, first 2 shown]
	v_cmp_lt_i32_e32 vcc_lo, 7, v69
	v_add_co_ci_u32_e64 v70, null, 0, v70, vcc_lo
	v_cmpx_lt_i32_e32 7, v71
	s_cbranch_execz .LBB2_151
; %bb.148:                              ;   in Loop: Header=BB2_57 Depth=2
	v_add_nc_u32_e32 v80, v80, v11
	s_mov_b32 s27, 0
	v_ashrrev_i32_e32 v81, 31, v80
	.p2align	6
.LBB2_149:                              ;   Parent Loop BB2_47 Depth=1
                                        ;     Parent Loop BB2_57 Depth=2
                                        ; =>    This Inner Loop Header: Depth=3
	v_add_co_u32 v82, s16, v54, v80
	v_add_co_ci_u32_e64 v83, null, v55, v81, s16
	v_sub_nc_u32_e32 v71, v71, v114
	v_add_co_u32 v84, s16, v64, v80
	flat_load_dwordx2 v[82:83], v[82:83] slc
	v_add_co_ci_u32_e64 v85, null, v65, v81, s16
	v_cmp_gt_i32_e64 s16, 8, v71
	v_add_co_u32 v80, s17, v80, v114
	v_sub_nc_u32_e32 v70, v70, v97
	v_add_co_ci_u32_e64 v81, null, 0, v81, s17
	s_or_b32 s27, s16, s27
	s_waitcnt vmcnt(0) lgkmcnt(0)
	flat_store_dwordx2 v[84:85], v[82:83] glc slc
	s_andn2_b32 exec_lo, exec_lo, s27
	s_cbranch_execnz .LBB2_149
; %bb.150:                              ;   in Loop: Header=BB2_57 Depth=2
	s_or_b32 exec_lo, exec_lo, s27
.LBB2_151:                              ;   in Loop: Header=BB2_57 Depth=2
	s_or_b32 exec_lo, exec_lo, s26
	v_and_b32_e32 v71, 7, v9
	v_cndmask_b32_e32 v9, v69, v71, vcc_lo
	v_cmp_ne_u32_e64 s16, 0, v9
	s_and_b32 exec_lo, exec_lo, s16
	s_cbranch_execz .LBB2_155
; %bb.152:                              ;   in Loop: Header=BB2_57 Depth=2
	v_cmp_lt_i32_e64 s16, 0, v70
	v_cndmask_b32_e64 v80, 0, v97, s16
	v_sub_nc_u32_e32 v70, v80, v70
	v_lshl_add_u32 v66, v70, 5, v66
	v_ashrrev_i32_e32 v70, 31, v66
	v_lshrrev_b32_e32 v70, 27, v70
	v_add_nc_u32_e32 v70, v66, v70
	v_and_b32_e32 v80, 0x1fffffe0, v70
	v_lshlrev_b32_e32 v70, 3, v70
	v_sub_nc_u32_e32 v66, v66, v80
	v_and_b32_e32 v70, 0xffffff00, v70
	v_lshl_add_u32 v66, v66, 3, v70
	v_sub_nc_u32_e32 v9, v9, v66
	v_cmp_lt_i32_e64 s16, 7, v9
	s_and_b32 exec_lo, exec_lo, s16
	s_cbranch_execz .LBB2_155
; %bb.153:                              ;   in Loop: Header=BB2_57 Depth=2
	v_sub_nc_u32_e32 v69, v69, v71
	v_add_nc_u32_e32 v11, v67, v11
	s_mov_b32 s17, 0
	v_cndmask_b32_e32 v67, 0, v69, vcc_lo
	v_add3_u32 v11, v11, v67, v66
	v_ashrrev_i32_e32 v66, 31, v11
	.p2align	6
.LBB2_154:                              ;   Parent Loop BB2_47 Depth=1
                                        ;     Parent Loop BB2_57 Depth=2
                                        ; =>    This Inner Loop Header: Depth=3
	v_add_co_u32 v69, vcc_lo, v54, v11
	v_add_co_ci_u32_e64 v70, null, v55, v66, vcc_lo
	v_sub_nc_u32_e32 v9, v9, v115
	v_add_co_u32 v80, vcc_lo, v64, v11
	flat_load_dwordx2 v[69:70], v[69:70] slc
	v_add_co_ci_u32_e64 v81, null, v65, v66, vcc_lo
	v_cmp_gt_i32_e32 vcc_lo, 8, v9
	v_add_co_u32 v11, s16, v11, v114
	v_add_co_ci_u32_e64 v66, null, 0, v66, s16
	s_or_b32 s17, vcc_lo, s17
	s_waitcnt vmcnt(0) lgkmcnt(0)
	flat_store_dwordx2 v[80:81], v[69:70] glc slc
	s_andn2_b32 exec_lo, exec_lo, s17
	s_cbranch_execnz .LBB2_154
.LBB2_155:                              ;   in Loop: Header=BB2_57 Depth=2
	s_or_b32 exec_lo, exec_lo, s25
	v_cmp_lt_i32_e64 s16, 0, v2
	s_and_saveexec_b32 s17, s6
	s_cbranch_execz .LBB2_130
.LBB2_156:                              ;   in Loop: Header=BB2_57 Depth=2
	s_and_saveexec_b32 s25, s44
	s_xor_b32 s25, exec_lo, s25
	s_cbranch_execz .LBB2_171
; %bb.157:                              ;   in Loop: Header=BB2_57 Depth=2
	s_and_saveexec_b32 s26, s11
	s_cbranch_execz .LBB2_170
; %bb.158:                              ;   in Loop: Header=BB2_57 Depth=2
	s_mov_b32 s28, exec_lo
	s_mov_b32 s27, exec_lo
	v_mbcnt_lo_u32_b32 v2, s28, 0
	s_waitcnt vmcnt(0) lgkmcnt(0)
	s_waitcnt_vscnt null, 0x0
	buffer_gl1_inv
	buffer_gl0_inv
	v_cmpx_eq_u32_e32 0, v2
	s_cbranch_execz .LBB2_160
; %bb.159:                              ;   in Loop: Header=BB2_57 Depth=2
	s_bcnt1_i32_b32 s28, s28
	v_mov_b32_e32 v2, s28
	ds_add_u64 v0, v[2:3]
	s_trap 2
.LBB2_160:                              ;   in Loop: Header=BB2_57 Depth=2
	s_or_b32 exec_lo, exec_lo, s27
	s_trap 2
	ds_read_b64 v[54:55], v0
	s_waitcnt lgkmcnt(0)
	buffer_gl0_inv
	v_add_co_u32 v12, vcc_lo, v12, v97
	v_add_co_ci_u32_e64 v13, null, 0, v13, vcc_lo
	s_mov_b32 s27, exec_lo
	v_cmpx_lt_u64_e64 v[54:55], v[12:13]
	s_cbranch_execz .LBB2_169
; %bb.161:                              ;   in Loop: Header=BB2_57 Depth=2
	s_mov_b32 s28, 0
	s_mov_b32 s76, 0
                                        ; implicit-def: $sgpr29
                                        ; implicit-def: $sgpr75
	s_inst_prefetch 0x1
	s_branch .LBB2_163
	.p2align	6
.LBB2_162:                              ;   in Loop: Header=BB2_163 Depth=3
	s_or_b32 exec_lo, exec_lo, s78
	s_and_b32 s77, exec_lo, s79
	s_or_b32 s28, s77, s28
	s_andn2_b32 s29, s29, exec_lo
	s_and_b32 s77, s75, exec_lo
	s_or_b32 s29, s29, s77
	s_andn2_b32 exec_lo, exec_lo, s28
	s_cbranch_execz .LBB2_167
.LBB2_163:                              ;   Parent Loop BB2_47 Depth=1
                                        ;     Parent Loop BB2_57 Depth=2
                                        ; =>    This Inner Loop Header: Depth=3
	s_add_i32 s76, s76, 1
	s_cmpk_lg_i32 s76, 0x2710
	s_cselect_b32 s77, -1, 0
	s_and_b32 vcc_lo, exec_lo, s77
	s_cbranch_vccz .LBB2_165
; %bb.164:                              ;   in Loop: Header=BB2_163 Depth=3
	s_mov_b32 s79, -1
	s_or_b32 s75, s75, exec_lo
	s_and_saveexec_b32 s78, s77
	s_cbranch_execz .LBB2_162
	s_branch .LBB2_166
	.p2align	6
.LBB2_165:                              ;   in Loop: Header=BB2_163 Depth=3
	s_trap 2
	ds_read_b64 v[54:55], v0
	s_andn2_b32 s77, s77, exec_lo
	s_mov_b32 s76, 0
	s_waitcnt lgkmcnt(0)
	flat_load_dword v2, v[54:55] glc dlc
	s_waitcnt vmcnt(0) lgkmcnt(0)
	buffer_gl1_inv
	buffer_gl0_inv
	v_cmp_eq_u32_e32 vcc_lo, 0, v2
	s_and_b32 s78, vcc_lo, exec_lo
	s_or_b32 s77, s77, s78
	s_mov_b32 s79, -1
	s_or_b32 s75, s75, exec_lo
	s_and_saveexec_b32 s78, s77
	s_cbranch_execz .LBB2_162
.LBB2_166:                              ;   in Loop: Header=BB2_163 Depth=3
	s_sleep 1
	s_trap 2
	ds_read_b64 v[54:55], v0
	s_waitcnt lgkmcnt(0)
	buffer_gl0_inv
	s_andn2_b32 s75, s75, exec_lo
	v_cmp_ge_u64_e32 vcc_lo, v[54:55], v[12:13]
	s_orn2_b32 s79, vcc_lo, exec_lo
	s_branch .LBB2_162
.LBB2_167:                              ;   in Loop: Header=BB2_57 Depth=2
	s_inst_prefetch 0x2
	s_or_b32 exec_lo, exec_lo, s28
	s_and_saveexec_b32 s28, s29
	s_xor_b32 s28, exec_lo, s28
	s_cbranch_execz .LBB2_169
; %bb.168:                              ;   in Loop: Header=BB2_57 Depth=2
	ds_write_b32 v0, v101
	s_trap 2
.LBB2_169:                              ;   in Loop: Header=BB2_57 Depth=2
	s_or_b32 exec_lo, exec_lo, s27
	;;#ASMSTART
	s_wakeup
	;;#ASMEND
.LBB2_170:                              ;   in Loop: Header=BB2_57 Depth=2
	s_or_b32 exec_lo, exec_lo, s26
.LBB2_171:                              ;   in Loop: Header=BB2_57 Depth=2
	s_andn2_saveexec_b32 s25, s25
	s_cbranch_execz .LBB2_173
; %bb.172:                              ;   in Loop: Header=BB2_57 Depth=2
	s_waitcnt vmcnt(0) lgkmcnt(0)
	s_waitcnt_vscnt null, 0x0
	buffer_gl1_inv
	buffer_gl0_inv
	s_barrier
.LBB2_173:                              ;   in Loop: Header=BB2_57 Depth=2
	s_or_b32 exec_lo, exec_lo, s25
	s_or_b32 exec_lo, exec_lo, s17
                                        ; implicit-def: $vgpr2
	s_and_saveexec_b32 s17, s15
	s_xor_b32 s17, exec_lo, s17
	s_cbranch_execnz .LBB2_131
.LBB2_174:                              ;   in Loop: Header=BB2_57 Depth=2
	s_andn2_saveexec_b32 s16, s17
	s_cbranch_execz .LBB2_193
.LBB2_175:                              ;   in Loop: Header=BB2_57 Depth=2
	s_and_saveexec_b32 s17, s44
	s_xor_b32 s17, exec_lo, s17
	s_cbranch_execz .LBB2_190
; %bb.176:                              ;   in Loop: Header=BB2_57 Depth=2
	s_and_saveexec_b32 s25, s11
	s_cbranch_execz .LBB2_189
; %bb.177:                              ;   in Loop: Header=BB2_57 Depth=2
	s_mov_b32 s27, exec_lo
	s_mov_b32 s26, exec_lo
	v_mbcnt_lo_u32_b32 v2, s27, 0
	;;#ASMSTART
	s_waitcnt lgkmcnt(0) vmcnt(0)
	;;#ASMEND
	v_cmpx_eq_u32_e32 0, v2
	s_cbranch_execz .LBB2_179
; %bb.178:                              ;   in Loop: Header=BB2_57 Depth=2
	s_bcnt1_i32_b32 s27, s27
	v_mov_b32_e32 v2, s27
	s_waitcnt vmcnt(0) lgkmcnt(0)
	s_waitcnt_vscnt null, 0x0
	ds_add_u64 v0, v[2:3]
	s_trap 2
.LBB2_179:                              ;   in Loop: Header=BB2_57 Depth=2
	s_or_b32 exec_lo, exec_lo, s26
	s_trap 2
	ds_read_b64 v[54:55], v0
	s_waitcnt vmcnt(0) lgkmcnt(0)
	buffer_gl0_inv
	v_add_co_u32 v12, vcc_lo, v12, v97
	v_add_co_ci_u32_e64 v13, null, 0, v13, vcc_lo
	s_mov_b32 s26, exec_lo
	v_cmpx_lt_u64_e64 v[54:55], v[12:13]
	s_cbranch_execz .LBB2_188
; %bb.180:                              ;   in Loop: Header=BB2_57 Depth=2
	s_mov_b32 s27, 0
	s_mov_b32 s75, 0
                                        ; implicit-def: $sgpr28
                                        ; implicit-def: $sgpr29
	s_inst_prefetch 0x1
	s_branch .LBB2_182
	.p2align	6
.LBB2_181:                              ;   in Loop: Header=BB2_182 Depth=3
	s_or_b32 exec_lo, exec_lo, s77
	s_and_b32 s76, exec_lo, s78
	s_or_b32 s27, s76, s27
	s_andn2_b32 s28, s28, exec_lo
	s_and_b32 s76, s29, exec_lo
	s_or_b32 s28, s28, s76
	s_andn2_b32 exec_lo, exec_lo, s27
	s_cbranch_execz .LBB2_186
.LBB2_182:                              ;   Parent Loop BB2_47 Depth=1
                                        ;     Parent Loop BB2_57 Depth=2
                                        ; =>    This Inner Loop Header: Depth=3
	s_add_i32 s75, s75, 1
	s_cmpk_lg_i32 s75, 0x2710
	s_cselect_b32 s76, -1, 0
	s_and_b32 vcc_lo, exec_lo, s76
	s_cbranch_vccz .LBB2_184
; %bb.183:                              ;   in Loop: Header=BB2_182 Depth=3
	s_mov_b32 s78, -1
	s_or_b32 s29, s29, exec_lo
	s_and_saveexec_b32 s77, s76
	s_cbranch_execz .LBB2_181
	s_branch .LBB2_185
	.p2align	6
.LBB2_184:                              ;   in Loop: Header=BB2_182 Depth=3
	s_trap 2
	ds_read_b64 v[54:55], v0
	s_andn2_b32 s76, s76, exec_lo
	s_mov_b32 s75, 0
	s_waitcnt lgkmcnt(0)
	s_waitcnt_vscnt null, 0x0
	flat_load_dword v2, v[54:55] glc dlc
	s_waitcnt vmcnt(0) lgkmcnt(0)
	buffer_gl1_inv
	buffer_gl0_inv
	v_cmp_eq_u32_e32 vcc_lo, 0, v2
	s_and_b32 s77, vcc_lo, exec_lo
	s_or_b32 s76, s76, s77
	s_mov_b32 s78, -1
	s_or_b32 s29, s29, exec_lo
	s_and_saveexec_b32 s77, s76
	s_cbranch_execz .LBB2_181
.LBB2_185:                              ;   in Loop: Header=BB2_182 Depth=3
	s_sleep 1
	s_trap 2
	ds_read_b64 v[54:55], v0
	s_waitcnt lgkmcnt(0)
	buffer_gl0_inv
	s_andn2_b32 s29, s29, exec_lo
	v_cmp_ge_u64_e32 vcc_lo, v[54:55], v[12:13]
	s_orn2_b32 s78, vcc_lo, exec_lo
	s_branch .LBB2_181
.LBB2_186:                              ;   in Loop: Header=BB2_57 Depth=2
	s_inst_prefetch 0x2
	s_or_b32 exec_lo, exec_lo, s27
	s_and_saveexec_b32 s27, s28
	s_xor_b32 s27, exec_lo, s27
	s_cbranch_execz .LBB2_188
; %bb.187:                              ;   in Loop: Header=BB2_57 Depth=2
	ds_write_b32 v0, v101
	s_trap 2
.LBB2_188:                              ;   in Loop: Header=BB2_57 Depth=2
	s_or_b32 exec_lo, exec_lo, s26
	;;#ASMSTART
	s_wakeup
	;;#ASMEND
.LBB2_189:                              ;   in Loop: Header=BB2_57 Depth=2
	s_or_b32 exec_lo, exec_lo, s25
.LBB2_190:                              ;   in Loop: Header=BB2_57 Depth=2
	s_andn2_saveexec_b32 s17, s17
	s_cbranch_execz .LBB2_192
; %bb.191:                              ;   in Loop: Header=BB2_57 Depth=2
	;;#ASMSTART
	s_waitcnt lgkmcnt(0) vmcnt(0)
	;;#ASMEND
	s_barrier
.LBB2_192:                              ;   in Loop: Header=BB2_57 Depth=2
	s_or_b32 exec_lo, exec_lo, s17
	v_and_b32_e32 v2, 16, v87
.LBB2_193:                              ;   in Loop: Header=BB2_57 Depth=2
	s_or_b32 exec_lo, exec_lo, s16
	s_mov_b32 s16, exec_lo
	v_cmpx_ne_u32_e32 0, v2
	s_cbranch_execz .LBB2_56
; %bb.194:                              ;   in Loop: Header=BB2_57 Depth=2
	s_and_saveexec_b32 s17, s10
	s_cbranch_execz .LBB2_55
; %bb.195:                              ;   in Loop: Header=BB2_57 Depth=2
	s_waitcnt vmcnt(0) lgkmcnt(0)
	s_waitcnt_vscnt null, 0x0
	flat_store_dword v[24:25], v101
	s_branch .LBB2_55
.LBB2_196:                              ;   in Loop: Header=BB2_47 Depth=1
	s_or_b32 exec_lo, exec_lo, s19
.LBB2_197:                              ;   in Loop: Header=BB2_47 Depth=1
	s_or_b32 exec_lo, exec_lo, s18
	s_mov_b32 s17, exec_lo
	v_cmpx_gt_i32_e32 2, v2
	s_cbranch_execz .LBB2_271
; %bb.198:                              ;   in Loop: Header=BB2_47 Depth=1
	v_cmp_eq_u32_e64 s19, 0, v2
	s_mov_b32 s18, 0
	s_branch .LBB2_201
.LBB2_199:                              ;   in Loop: Header=BB2_201 Depth=2
	s_or_b32 exec_lo, exec_lo, s19
	v_add_co_u32 v38, vcc_lo, v38, 2
	v_add_co_ci_u32_e64 v39, null, 0, v39, vcc_lo
	s_waitcnt vmcnt(0) lgkmcnt(0)
	s_waitcnt_vscnt null, 0x0
	flat_store_dwordx2 v[20:21], v[38:39]
.LBB2_200:                              ;   in Loop: Header=BB2_201 Depth=2
	s_or_b32 exec_lo, exec_lo, s16
	v_add_nc_u32_e32 v10, v8, v10
	s_mov_b32 s19, 0
	s_andn2_b32 exec_lo, exec_lo, s18
	s_cbranch_execz .LBB2_270
.LBB2_201:                              ;   Parent Loop BB2_47 Depth=1
                                        ; =>  This Loop Header: Depth=2
                                        ;       Child Loop BB2_207 Depth 3
                                        ;       Child Loop BB2_231 Depth 3
	;; [unrolled: 1-line block ×3, first 2 shown]
	v_sub_nc_u32_e32 v2, v68, v10
	v_and_b32_e32 v9, 8, v87
	s_mov_b32 s20, exec_lo
	v_min_i32_e32 v8, v8, v2
	v_cmpx_ne_u32_e32 0, v9
	s_cbranch_execz .LBB2_223
; %bb.202:                              ;   in Loop: Header=BB2_201 Depth=2
	s_waitcnt vmcnt(0) lgkmcnt(1)
	v_add_co_u32 v54, vcc_lo, v26, 8
	v_add_co_ci_u32_e64 v55, null, 0, v27, vcc_lo
	v_add_co_u32 v52, vcc_lo, v38, 2
	v_add_co_ci_u32_e64 v53, null, 0, v39, vcc_lo
	s_mov_b32 s22, exec_lo
	v_cmpx_lt_u64_e64 v[54:55], v[52:53]
	s_cbranch_execz .LBB2_214
; %bb.203:                              ;   in Loop: Header=BB2_201 Depth=2
	v_and_b32_e32 v2, 64, v87
	s_mov_b32 s25, 0
	s_mov_b32 s29, 0
                                        ; implicit-def: $sgpr26
                                        ; implicit-def: $sgpr27
                                        ; implicit-def: $sgpr28
	v_cmp_eq_u32_e32 vcc_lo, 0, v2
	s_branch .LBB2_207
.LBB2_204:                              ;   in Loop: Header=BB2_207 Depth=3
	s_waitcnt vmcnt(0) lgkmcnt(0)
	v_add_co_u32 v54, s16, v26, 8
	v_add_co_ci_u32_e64 v55, null, 0, v27, s16
	s_or_b32 s77, s77, exec_lo
	v_cmp_ge_u64_e64 s16, v[54:55], v[52:53]
	s_orn2_b32 s76, s16, exec_lo
.LBB2_205:                              ;   in Loop: Header=BB2_207 Depth=3
	s_or_b32 exec_lo, exec_lo, s79
	s_andn2_b32 s16, s28, exec_lo
	s_and_b32 s28, s77, exec_lo
	s_andn2_b32 s27, s27, exec_lo
	s_and_b32 s76, s76, exec_lo
	s_or_b32 s28, s16, s28
	s_or_b32 s27, s27, s76
.LBB2_206:                              ;   in Loop: Header=BB2_207 Depth=3
	s_or_b32 exec_lo, exec_lo, s75
	s_and_b32 s16, exec_lo, s27
	s_or_b32 s25, s16, s25
	s_andn2_b32 s16, s26, exec_lo
	s_and_b32 s26, s28, exec_lo
	s_or_b32 s26, s16, s26
	s_andn2_b32 exec_lo, exec_lo, s25
	s_cbranch_execz .LBB2_211
.LBB2_207:                              ;   Parent Loop BB2_47 Depth=1
                                        ;     Parent Loop BB2_201 Depth=2
                                        ; =>    This Inner Loop Header: Depth=3
	s_sleep 1
	s_waitcnt vmcnt(0) lgkmcnt(0)
	flat_load_dwordx2 v[26:27], v[20:21] glc dlc
	s_or_b32 s28, s28, exec_lo
	s_or_b32 s27, s27, exec_lo
                                        ; implicit-def: $vgpr2
	s_and_saveexec_b32 s75, vcc_lo
	s_cbranch_execz .LBB2_206
; %bb.208:                              ;   in Loop: Header=BB2_207 Depth=3
	s_cmpk_lt_i32 s29, 0x270f
	s_mov_b32 s76, -1
	s_cselect_b32 s78, -1, 0
	s_cmpk_gt_i32 s29, 0x270e
	s_cbranch_scc0 .LBB2_210
; %bb.209:                              ;   in Loop: Header=BB2_207 Depth=3
	s_trap 2
	ds_read_b64 v[54:55], v0
	s_andn2_b32 s29, s78, exec_lo
	s_mov_b32 s77, 0
	s_waitcnt vmcnt(0) lgkmcnt(0)
	s_waitcnt_vscnt null, 0x0
	flat_load_dword v2, v[54:55] glc dlc
	s_waitcnt vmcnt(0) lgkmcnt(0)
	buffer_gl1_inv
	buffer_gl0_inv
	v_cmp_eq_u32_e64 s16, 0, v2
	s_and_b32 s16, s16, exec_lo
	s_or_b32 s78, s29, s16
	s_mov_b32 s29, 0
	s_and_saveexec_b32 s79, s78
	s_cbranch_execz .LBB2_205
	s_branch .LBB2_204
.LBB2_210:                              ;   in Loop: Header=BB2_207 Depth=3
	s_add_i32 s29, s29, 1
	s_mov_b32 s77, -1
                                        ; implicit-def: $vgpr2
	s_and_saveexec_b32 s79, s78
	s_cbranch_execz .LBB2_205
	s_branch .LBB2_204
.LBB2_211:                              ;   in Loop: Header=BB2_201 Depth=2
	s_or_b32 exec_lo, exec_lo, s25
	s_xor_b32 s16, s26, -1
	s_and_saveexec_b32 s25, s16
	s_xor_b32 s16, exec_lo, s25
	s_cbranch_execz .LBB2_213
; %bb.212:                              ;   in Loop: Header=BB2_201 Depth=2
	v_or_b32_e32 v87, 64, v87
	s_waitcnt vmcnt(0) lgkmcnt(0)
	s_waitcnt_vscnt null, 0x0
	ds_write_b32 v0, v2
	s_trap 2
.LBB2_213:                              ;   in Loop: Header=BB2_201 Depth=2
	s_or_b32 exec_lo, exec_lo, s16
.LBB2_214:                              ;   in Loop: Header=BB2_201 Depth=2
	s_or_b32 exec_lo, exec_lo, s22
	v_and_b32_e32 v2, 0x100, v87
	s_mov_b32 s22, 0
	;;#ASMSTART
	s_wakeup
	;;#ASMEND
	v_cmp_ne_u32_e32 vcc_lo, 0, v2
	v_and_b32_e32 v2, 7, v38
                                        ; implicit-def: $vgpr38_vgpr39
	s_and_saveexec_b32 s16, vcc_lo
	s_xor_b32 s16, exec_lo, s16
	s_cbranch_execz .LBB2_235
; %bb.215:                              ;   in Loop: Header=BB2_201 Depth=2
	v_mad_u64_u32 v[54:55], null, v2, 24, v[6:7]
	v_ashrrev_i32_e32 v9, 31, v8
	s_mov_b32 s22, -1
	s_mov_b32 s25, exec_lo
	v_lshlrev_b64 v[38:39], 3, v[8:9]
	flat_load_dword v11, v[54:55]
	flat_store_dwordx2 v[54:55], v[38:39] offset:8
                                        ; implicit-def: $vgpr38_vgpr39
	s_waitcnt vmcnt(0) lgkmcnt(1)
	v_cmpx_eq_u32_e32 1, v11
	s_cbranch_execz .LBB2_217
; %bb.216:                              ;   in Loop: Header=BB2_201 Depth=2
	flat_load_dword v38, v[54:55] offset:4 glc dlc
	s_xor_b32 s22, exec_lo, -1
	s_waitcnt vmcnt(0) lgkmcnt(0)
	v_ashrrev_i32_e32 v39, 31, v38
	v_lshrrev_b64 v[38:39], 3, v[38:39]
.LBB2_217:                              ;   in Loop: Header=BB2_201 Depth=2
	s_or_b32 exec_lo, exec_lo, s25
	s_and_b32 s22, s22, exec_lo
	s_andn2_saveexec_b32 s16, s16
	s_cbranch_execnz .LBB2_236
.LBB2_218:                              ;   in Loop: Header=BB2_201 Depth=2
	s_or_b32 exec_lo, exec_lo, s16
	s_and_saveexec_b32 s16, s22
.LBB2_219:                              ;   in Loop: Header=BB2_201 Depth=2
	v_mul_lo_u32 v9, v3, v96
	v_mul_lo_u32 v11, v2, v30
	v_mad_u64_u32 v[38:39], null, v2, v96, 0
	v_add3_u32 v39, v39, v11, v9
.LBB2_220:                              ;   in Loop: Header=BB2_201 Depth=2
	s_or_b32 exec_lo, exec_lo, s16
	v_lshlrev_b64 v[38:39], 3, v[38:39]
	v_and_b32_e32 v2, 0x2000, v87
	s_mov_b32 s16, exec_lo
	v_add_co_u32 v38, vcc_lo, v22, v38
	v_add_co_ci_u32_e64 v39, null, v23, v39, vcc_lo
	ds_write_b64 v0, v[38:39] offset:784
	v_cmpx_ne_u32_e32 0, v2
	s_cbranch_execz .LBB2_222
; %bb.221:                              ;   in Loop: Header=BB2_201 Depth=2
	ds_read_b64 v[38:39], v0 offset:872
	s_waitcnt lgkmcnt(0)
	v_add_co_u32 v38, vcc_lo, v38, 1
	v_add_co_ci_u32_e64 v39, null, 0, v39, vcc_lo
	ds_write_b64 v0, v[38:39] offset:872
.LBB2_222:                              ;   in Loop: Header=BB2_201 Depth=2
	s_or_b32 exec_lo, exec_lo, s16
	v_mov_b32_e32 v38, v52
	v_mov_b32_e32 v39, v53
.LBB2_223:                              ;   in Loop: Header=BB2_201 Depth=2
	s_or_b32 exec_lo, exec_lo, s20
	s_xor_b32 s16, s19, -1
	s_and_b32 s16, exec_lo, s16
	s_or_b32 s18, s16, s18
	s_and_saveexec_b32 s16, s6
	s_cbranch_execz .LBB2_244
; %bb.224:                              ;   in Loop: Header=BB2_201 Depth=2
	s_and_saveexec_b32 s19, s44
	s_xor_b32 s19, exec_lo, s19
	s_cbranch_execz .LBB2_241
; %bb.225:                              ;   in Loop: Header=BB2_201 Depth=2
	s_and_saveexec_b32 s20, s11
	s_cbranch_execz .LBB2_240
; %bb.226:                              ;   in Loop: Header=BB2_201 Depth=2
	s_mov_b32 s25, exec_lo
	s_mov_b32 s22, exec_lo
	v_mbcnt_lo_u32_b32 v2, s25, 0
	s_waitcnt vmcnt(0) lgkmcnt(0)
	s_waitcnt_vscnt null, 0x0
	buffer_gl1_inv
	buffer_gl0_inv
	v_cmpx_eq_u32_e32 0, v2
	s_cbranch_execz .LBB2_228
; %bb.227:                              ;   in Loop: Header=BB2_201 Depth=2
	s_bcnt1_i32_b32 s25, s25
	v_mov_b32_e32 v2, s25
	ds_add_u64 v0, v[2:3]
	s_trap 2
.LBB2_228:                              ;   in Loop: Header=BB2_201 Depth=2
	s_or_b32 exec_lo, exec_lo, s22
	s_trap 2
	ds_read_b64 v[52:53], v0
	s_waitcnt lgkmcnt(0)
	buffer_gl0_inv
	v_add_co_u32 v12, vcc_lo, v12, v97
	v_add_co_ci_u32_e64 v13, null, 0, v13, vcc_lo
	s_mov_b32 s22, exec_lo
	v_cmpx_lt_u64_e64 v[52:53], v[12:13]
	s_cbranch_execz .LBB2_239
; %bb.229:                              ;   in Loop: Header=BB2_201 Depth=2
	s_mov_b32 s25, 0
	s_mov_b32 s28, 0
                                        ; implicit-def: $sgpr26
                                        ; implicit-def: $sgpr27
	s_inst_prefetch 0x1
	s_branch .LBB2_231
	.p2align	6
.LBB2_230:                              ;   in Loop: Header=BB2_231 Depth=3
	s_or_b32 exec_lo, exec_lo, s75
	s_and_b32 s29, exec_lo, s76
	s_or_b32 s25, s29, s25
	s_andn2_b32 s26, s26, exec_lo
	s_and_b32 s29, s27, exec_lo
	s_or_b32 s26, s26, s29
	s_andn2_b32 exec_lo, exec_lo, s25
	s_cbranch_execz .LBB2_237
.LBB2_231:                              ;   Parent Loop BB2_47 Depth=1
                                        ;     Parent Loop BB2_201 Depth=2
                                        ; =>    This Inner Loop Header: Depth=3
	s_add_i32 s28, s28, 1
	s_cmpk_lg_i32 s28, 0x2710
	s_cselect_b32 s29, -1, 0
	s_and_b32 vcc_lo, exec_lo, s29
	s_cbranch_vccz .LBB2_233
; %bb.232:                              ;   in Loop: Header=BB2_231 Depth=3
	s_mov_b32 s76, -1
	s_or_b32 s27, s27, exec_lo
	s_and_saveexec_b32 s75, s29
	s_cbranch_execz .LBB2_230
	s_branch .LBB2_234
	.p2align	6
.LBB2_233:                              ;   in Loop: Header=BB2_231 Depth=3
	s_trap 2
	ds_read_b64 v[52:53], v0
	s_andn2_b32 s29, s29, exec_lo
	s_mov_b32 s28, 0
	s_waitcnt lgkmcnt(0)
	flat_load_dword v2, v[52:53] glc dlc
	s_waitcnt vmcnt(0) lgkmcnt(0)
	buffer_gl1_inv
	buffer_gl0_inv
	v_cmp_eq_u32_e32 vcc_lo, 0, v2
	s_and_b32 s75, vcc_lo, exec_lo
	s_or_b32 s29, s29, s75
	s_mov_b32 s76, -1
	s_or_b32 s27, s27, exec_lo
	s_and_saveexec_b32 s75, s29
	s_cbranch_execz .LBB2_230
.LBB2_234:                              ;   in Loop: Header=BB2_231 Depth=3
	s_sleep 1
	s_trap 2
	ds_read_b64 v[52:53], v0
	s_waitcnt lgkmcnt(0)
	buffer_gl0_inv
	s_andn2_b32 s27, s27, exec_lo
	v_cmp_ge_u64_e32 vcc_lo, v[52:53], v[12:13]
	s_orn2_b32 s76, vcc_lo, exec_lo
	s_branch .LBB2_230
.LBB2_235:                              ;   in Loop: Header=BB2_201 Depth=2
	s_andn2_saveexec_b32 s16, s16
	s_cbranch_execz .LBB2_218
.LBB2_236:                              ;   in Loop: Header=BB2_201 Depth=2
	s_or_b32 s22, s22, exec_lo
	s_or_b32 exec_lo, exec_lo, s16
	s_and_saveexec_b32 s16, s22
	s_cbranch_execnz .LBB2_219
	s_branch .LBB2_220
.LBB2_237:                              ;   in Loop: Header=BB2_201 Depth=2
	s_inst_prefetch 0x2
	s_or_b32 exec_lo, exec_lo, s25
	s_and_saveexec_b32 s25, s26
	s_xor_b32 s25, exec_lo, s25
	s_cbranch_execz .LBB2_239
; %bb.238:                              ;   in Loop: Header=BB2_201 Depth=2
	ds_write_b32 v0, v101
	s_trap 2
.LBB2_239:                              ;   in Loop: Header=BB2_201 Depth=2
	s_or_b32 exec_lo, exec_lo, s22
	;;#ASMSTART
	s_wakeup
	;;#ASMEND
.LBB2_240:                              ;   in Loop: Header=BB2_201 Depth=2
	s_or_b32 exec_lo, exec_lo, s20
.LBB2_241:                              ;   in Loop: Header=BB2_201 Depth=2
	s_andn2_saveexec_b32 s19, s19
	s_cbranch_execz .LBB2_243
; %bb.242:                              ;   in Loop: Header=BB2_201 Depth=2
	s_waitcnt vmcnt(0) lgkmcnt(0)
	s_waitcnt_vscnt null, 0x0
	buffer_gl1_inv
	buffer_gl0_inv
	s_barrier
.LBB2_243:                              ;   in Loop: Header=BB2_201 Depth=2
	s_or_b32 exec_lo, exec_lo, s19
.LBB2_244:                              ;   in Loop: Header=BB2_201 Depth=2
	s_or_b32 exec_lo, exec_lo, s16
                                        ; implicit-def: $vgpr2
	s_and_saveexec_b32 s16, s15
	s_xor_b32 s19, exec_lo, s16
	s_cbranch_execz .LBB2_248
; %bb.245:                              ;   in Loop: Header=BB2_201 Depth=2
	s_trap 2
	ds_read_b32 v2, v0
	v_cmp_lt_i32_e32 vcc_lo, 0, v8
	s_waitcnt lgkmcnt(0)
	v_readfirstlane_b32 s16, v2
	v_and_b32_e32 v2, 16, v87
	s_cmp_eq_u32 s16, 0
	v_cmp_ne_u32_e64 s16, 0, v2
	s_cselect_b32 s20, -1, 0
	v_and_b32_e32 v2, 16, v87
	s_and_b32 s20, vcc_lo, s20
	s_and_b32 s20, s16, s20
	s_and_saveexec_b32 s16, s20
	s_cbranch_execz .LBB2_247
; %bb.246:                              ;   in Loop: Header=BB2_201 Depth=2
	v_mov_b32_e32 v2, 1
	s_waitcnt vmcnt(0)
	s_waitcnt_vscnt null, 0x0
	buffer_gl1_inv
	buffer_gl0_inv
.LBB2_247:                              ;   in Loop: Header=BB2_201 Depth=2
	s_or_b32 exec_lo, exec_lo, s16
	s_andn2_saveexec_b32 s16, s19
	s_cbranch_execz .LBB2_267
	s_branch .LBB2_249
.LBB2_248:                              ;   in Loop: Header=BB2_201 Depth=2
	s_andn2_saveexec_b32 s16, s19
	s_cbranch_execz .LBB2_267
.LBB2_249:                              ;   in Loop: Header=BB2_201 Depth=2
	s_and_saveexec_b32 s19, s44
	s_xor_b32 s19, exec_lo, s19
	s_cbranch_execz .LBB2_264
; %bb.250:                              ;   in Loop: Header=BB2_201 Depth=2
	s_and_saveexec_b32 s20, s11
	s_cbranch_execz .LBB2_263
; %bb.251:                              ;   in Loop: Header=BB2_201 Depth=2
	s_mov_b32 s25, exec_lo
	s_mov_b32 s22, exec_lo
	v_mbcnt_lo_u32_b32 v2, s25, 0
	;;#ASMSTART
	s_waitcnt lgkmcnt(0) vmcnt(0)
	;;#ASMEND
	v_cmpx_eq_u32_e32 0, v2
	s_cbranch_execz .LBB2_253
; %bb.252:                              ;   in Loop: Header=BB2_201 Depth=2
	s_bcnt1_i32_b32 s25, s25
	v_mov_b32_e32 v2, s25
	s_waitcnt vmcnt(0) lgkmcnt(0)
	s_waitcnt_vscnt null, 0x0
	ds_add_u64 v0, v[2:3]
	s_trap 2
.LBB2_253:                              ;   in Loop: Header=BB2_201 Depth=2
	s_or_b32 exec_lo, exec_lo, s22
	s_trap 2
	ds_read_b64 v[52:53], v0
	s_waitcnt vmcnt(0) lgkmcnt(0)
	buffer_gl0_inv
	v_add_co_u32 v12, vcc_lo, v12, v97
	v_add_co_ci_u32_e64 v13, null, 0, v13, vcc_lo
	s_mov_b32 s22, exec_lo
	v_cmpx_lt_u64_e64 v[52:53], v[12:13]
	s_cbranch_execz .LBB2_262
; %bb.254:                              ;   in Loop: Header=BB2_201 Depth=2
	s_mov_b32 s25, 0
	s_mov_b32 s28, 0
                                        ; implicit-def: $sgpr26
                                        ; implicit-def: $sgpr27
	s_inst_prefetch 0x1
	s_branch .LBB2_256
	.p2align	6
.LBB2_255:                              ;   in Loop: Header=BB2_256 Depth=3
	s_or_b32 exec_lo, exec_lo, s75
	s_and_b32 s29, exec_lo, s76
	s_or_b32 s25, s29, s25
	s_andn2_b32 s26, s26, exec_lo
	s_and_b32 s29, s27, exec_lo
	s_or_b32 s26, s26, s29
	s_andn2_b32 exec_lo, exec_lo, s25
	s_cbranch_execz .LBB2_260
.LBB2_256:                              ;   Parent Loop BB2_47 Depth=1
                                        ;     Parent Loop BB2_201 Depth=2
                                        ; =>    This Inner Loop Header: Depth=3
	s_add_i32 s28, s28, 1
	s_cmpk_lg_i32 s28, 0x2710
	s_cselect_b32 s29, -1, 0
	s_and_b32 vcc_lo, exec_lo, s29
	s_cbranch_vccz .LBB2_258
; %bb.257:                              ;   in Loop: Header=BB2_256 Depth=3
	s_mov_b32 s76, -1
	s_or_b32 s27, s27, exec_lo
	s_and_saveexec_b32 s75, s29
	s_cbranch_execz .LBB2_255
	s_branch .LBB2_259
	.p2align	6
.LBB2_258:                              ;   in Loop: Header=BB2_256 Depth=3
	s_trap 2
	ds_read_b64 v[52:53], v0
	s_andn2_b32 s29, s29, exec_lo
	s_mov_b32 s28, 0
	s_waitcnt lgkmcnt(0)
	s_waitcnt_vscnt null, 0x0
	flat_load_dword v2, v[52:53] glc dlc
	s_waitcnt vmcnt(0) lgkmcnt(0)
	buffer_gl1_inv
	buffer_gl0_inv
	v_cmp_eq_u32_e32 vcc_lo, 0, v2
	s_and_b32 s75, vcc_lo, exec_lo
	s_or_b32 s29, s29, s75
	s_mov_b32 s76, -1
	s_or_b32 s27, s27, exec_lo
	s_and_saveexec_b32 s75, s29
	s_cbranch_execz .LBB2_255
.LBB2_259:                              ;   in Loop: Header=BB2_256 Depth=3
	s_sleep 1
	s_trap 2
	ds_read_b64 v[52:53], v0
	s_waitcnt lgkmcnt(0)
	buffer_gl0_inv
	s_andn2_b32 s27, s27, exec_lo
	v_cmp_ge_u64_e32 vcc_lo, v[52:53], v[12:13]
	s_orn2_b32 s76, vcc_lo, exec_lo
	s_branch .LBB2_255
.LBB2_260:                              ;   in Loop: Header=BB2_201 Depth=2
	s_inst_prefetch 0x2
	s_or_b32 exec_lo, exec_lo, s25
	s_and_saveexec_b32 s25, s26
	s_xor_b32 s25, exec_lo, s25
	s_cbranch_execz .LBB2_262
; %bb.261:                              ;   in Loop: Header=BB2_201 Depth=2
	ds_write_b32 v0, v101
	s_trap 2
.LBB2_262:                              ;   in Loop: Header=BB2_201 Depth=2
	s_or_b32 exec_lo, exec_lo, s22
	;;#ASMSTART
	s_wakeup
	;;#ASMEND
.LBB2_263:                              ;   in Loop: Header=BB2_201 Depth=2
	s_or_b32 exec_lo, exec_lo, s20
.LBB2_264:                              ;   in Loop: Header=BB2_201 Depth=2
	s_andn2_saveexec_b32 s19, s19
	s_cbranch_execz .LBB2_266
; %bb.265:                              ;   in Loop: Header=BB2_201 Depth=2
	;;#ASMSTART
	s_waitcnt lgkmcnt(0) vmcnt(0)
	;;#ASMEND
	s_barrier
.LBB2_266:                              ;   in Loop: Header=BB2_201 Depth=2
	s_or_b32 exec_lo, exec_lo, s19
	v_and_b32_e32 v2, 16, v87
.LBB2_267:                              ;   in Loop: Header=BB2_201 Depth=2
	s_or_b32 exec_lo, exec_lo, s16
	s_mov_b32 s16, exec_lo
	v_cmpx_ne_u32_e32 0, v2
	s_cbranch_execz .LBB2_200
; %bb.268:                              ;   in Loop: Header=BB2_201 Depth=2
	s_and_saveexec_b32 s19, s10
	s_cbranch_execz .LBB2_199
; %bb.269:                              ;   in Loop: Header=BB2_201 Depth=2
	s_waitcnt vmcnt(0) lgkmcnt(0)
	s_waitcnt_vscnt null, 0x0
	flat_store_dword v[24:25], v101
	s_branch .LBB2_199
.LBB2_270:                              ;   in Loop: Header=BB2_47 Depth=1
	s_or_b32 exec_lo, exec_lo, s18
.LBB2_271:                              ;   in Loop: Header=BB2_47 Depth=1
	s_or_b32 exec_lo, exec_lo, s17
	s_andn2_b32 vcc_lo, exec_lo, s59
	s_cbranch_vccnz .LBB2_496
; %bb.272:                              ;   in Loop: Header=BB2_47 Depth=1
	s_mov_b32 s18, 2
	s_branch .LBB2_275
.LBB2_273:                              ;   in Loop: Header=BB2_275 Depth=2
	s_or_b32 exec_lo, exec_lo, s19
.LBB2_274:                              ;   in Loop: Header=BB2_275 Depth=2
	s_or_b32 exec_lo, exec_lo, s17
	s_add_i32 s18, s18, 1
	s_cmp_eq_u32 s18, s41
	s_cbranch_scc1 .LBB2_496
.LBB2_275:                              ;   Parent Loop BB2_47 Depth=1
                                        ; =>  This Loop Header: Depth=2
                                        ;       Child Loop BB2_278 Depth 3
                                        ;         Child Loop BB2_286 Depth 4
                                        ;         Child Loop BB2_314 Depth 4
	;; [unrolled: 1-line block ×9, first 2 shown]
                                        ;       Child Loop BB2_424 Depth 3
                                        ;         Child Loop BB2_430 Depth 4
                                        ;         Child Loop BB2_458 Depth 4
                                        ;         Child Loop BB2_477 Depth 4
	s_sub_i32 s16, s47, s18
	v_mov_b32_e32 v10, 0
	s_cmp_ge_i32 s16, s41
	s_mov_b32 s20, 0
	s_cselect_b32 s17, s41, 0
	s_sub_i32 s16, s16, s17
	s_ashr_i32 s17, s16, 31
	v_mul_lo_u32 v2, v37, s16
	v_mad_u64_u32 v[52:53], null, v36, s16, 0
	v_mul_lo_u32 v8, v36, s17
	v_add3_u32 v53, v53, v8, v2
	v_sub_co_u32 v8, vcc_lo, v48, v52
	v_sub_co_ci_u32_e64 v9, null, v49, v53, vcc_lo
	v_cmp_lt_i64_e32 vcc_lo, v[36:37], v[8:9]
	v_cndmask_b32_e32 v8, v8, v36, vcc_lo
	v_max_i32_e32 v80, 0, v8
	v_cmp_lt_i32_e32 vcc_lo, 0, v8
	v_add_nc_u32_e32 v2, 31, v80
	s_and_b32 s16, s62, vcc_lo
	v_lshrrev_b32_e32 v2, 1, v2
	v_and_b32_e32 v9, 0x3ffffff0, v2
	v_mov_b32_e32 v2, 0
	v_max_i32_e32 v8, s58, v9
	s_and_saveexec_b32 s19, s16
	s_cbranch_execz .LBB2_421
; %bb.276:                              ;   in Loop: Header=BB2_275 Depth=2
	v_lshlrev_b64 v[52:53], 3, v[52:53]
	v_mov_b32_e32 v10, 0
	s_mov_b32 s25, 1
	s_mov_b32 s22, -1
	s_branch .LBB2_278
.LBB2_277:                              ;   in Loop: Header=BB2_278 Depth=3
	s_or_b32 exec_lo, exec_lo, s16
	v_add_nc_u32_e32 v10, v8, v10
	s_xor_b32 s16, s22, -1
	v_mov_b32_e32 v2, s25
	s_mov_b32 s22, 0
	s_mov_b32 s25, 2
	v_cmp_ge_i32_e32 vcc_lo, v10, v80
	s_or_b32 s16, s16, vcc_lo
	s_and_b32 s16, exec_lo, s16
	s_or_b32 s20, s16, s20
	s_andn2_b32 exec_lo, exec_lo, s20
	s_cbranch_execz .LBB2_420
.LBB2_278:                              ;   Parent Loop BB2_47 Depth=1
                                        ;     Parent Loop BB2_275 Depth=2
                                        ; =>    This Loop Header: Depth=3
                                        ;         Child Loop BB2_286 Depth 4
                                        ;         Child Loop BB2_314 Depth 4
	;; [unrolled: 1-line block ×9, first 2 shown]
	s_and_saveexec_b32 s16, s4
	s_cbranch_execz .LBB2_280
; %bb.279:                              ;   in Loop: Header=BB2_278 Depth=3
	s_trap 2
	ds_read_b64 v[54:55], v0
	v_lshlrev_b64 v[64:65], 3, v[50:51]
	v_ashrrev_i32_e32 v11, 31, v10
	s_waitcnt lgkmcnt(0)
	v_add_co_u32 v2, vcc_lo, v54, v64
	v_add_co_ci_u32_e64 v9, null, v55, v65, vcc_lo
	v_lshlrev_b64 v[54:55], 3, v[10:11]
	v_add_co_u32 v2, vcc_lo, v2, v52
	v_add_co_ci_u32_e64 v9, null, v9, v53, vcc_lo
	v_add_co_u32 v54, vcc_lo, v2, v54
	v_add_co_ci_u32_e64 v55, null, v9, v55, vcc_lo
	v_mov_b32_e32 v2, v3
	ds_write_b64 v0, v[54:55]
	ds_write_b64 v0, v[2:3]
.LBB2_280:                              ;   in Loop: Header=BB2_278 Depth=3
	s_or_b32 exec_lo, exec_lo, s16
	v_sub_nc_u32_e32 v2, v80, v10
	v_and_b32_e32 v9, 12, v87
	s_mov_b32 s17, exec_lo
	v_min_i32_e32 v8, v8, v2
	v_cmpx_ne_u32_e32 0, v9
	s_cbranch_execz .LBB2_306
; %bb.281:                              ;   in Loop: Header=BB2_278 Depth=3
	v_and_b32_e32 v2, 8, v87
	s_mov_b32 s26, exec_lo
	s_waitcnt vmcnt(0) lgkmcnt(1)
	v_add_co_u32 v64, vcc_lo, v26, v2
	v_add_co_ci_u32_e64 v65, null, 0, v27, vcc_lo
	v_add_co_u32 v54, vcc_lo, v38, 2
	v_add_co_ci_u32_e64 v55, null, 0, v39, vcc_lo
	v_cmpx_lt_u64_e64 v[64:65], v[54:55]
	s_cbranch_execz .LBB2_293
; %bb.282:                              ;   in Loop: Header=BB2_278 Depth=3
	v_and_b32_e32 v9, 64, v87
	s_mov_b32 s27, 0
	s_mov_b32 s76, 0
                                        ; implicit-def: $sgpr28
                                        ; implicit-def: $sgpr29
                                        ; implicit-def: $sgpr75
	v_cmp_eq_u32_e32 vcc_lo, 0, v9
	s_branch .LBB2_286
.LBB2_283:                              ;   in Loop: Header=BB2_286 Depth=4
	s_waitcnt vmcnt(0) lgkmcnt(0)
	v_add_co_u32 v64, s16, v26, v2
	v_add_co_ci_u32_e64 v65, null, 0, v27, s16
	s_or_b32 s79, s79, exec_lo
	v_cmp_ge_u64_e64 s16, v[64:65], v[54:55]
	s_orn2_b32 s78, s16, exec_lo
.LBB2_284:                              ;   in Loop: Header=BB2_286 Depth=4
	s_or_b32 exec_lo, exec_lo, s89
	s_andn2_b32 s16, s75, exec_lo
	s_and_b32 s75, s79, exec_lo
	s_andn2_b32 s29, s29, exec_lo
	s_and_b32 s78, s78, exec_lo
	s_or_b32 s75, s16, s75
	s_or_b32 s29, s29, s78
.LBB2_285:                              ;   in Loop: Header=BB2_286 Depth=4
	s_or_b32 exec_lo, exec_lo, s77
	s_and_b32 s16, exec_lo, s29
	s_or_b32 s27, s16, s27
	s_andn2_b32 s16, s28, exec_lo
	s_and_b32 s28, s75, exec_lo
	s_or_b32 s28, s16, s28
	s_andn2_b32 exec_lo, exec_lo, s27
	s_cbranch_execz .LBB2_290
.LBB2_286:                              ;   Parent Loop BB2_47 Depth=1
                                        ;     Parent Loop BB2_275 Depth=2
                                        ;       Parent Loop BB2_278 Depth=3
                                        ; =>      This Inner Loop Header: Depth=4
	s_sleep 1
	s_waitcnt vmcnt(0) lgkmcnt(0)
	flat_load_dwordx2 v[26:27], v[20:21] glc dlc
	s_or_b32 s75, s75, exec_lo
	s_or_b32 s29, s29, exec_lo
                                        ; implicit-def: $vgpr9
	s_and_saveexec_b32 s77, vcc_lo
	s_cbranch_execz .LBB2_285
; %bb.287:                              ;   in Loop: Header=BB2_286 Depth=4
	s_cmpk_lt_i32 s76, 0x270f
	s_mov_b32 s78, -1
	s_cselect_b32 s88, -1, 0
	s_cmpk_gt_i32 s76, 0x270e
	s_cbranch_scc0 .LBB2_289
; %bb.288:                              ;   in Loop: Header=BB2_286 Depth=4
	s_trap 2
	ds_read_b64 v[64:65], v0
	s_andn2_b32 s76, s88, exec_lo
	s_mov_b32 s79, 0
	s_waitcnt vmcnt(0) lgkmcnt(0)
	s_waitcnt_vscnt null, 0x0
	flat_load_dword v9, v[64:65] glc dlc
	s_waitcnt vmcnt(0) lgkmcnt(0)
	buffer_gl1_inv
	buffer_gl0_inv
	v_cmp_eq_u32_e64 s16, 0, v9
	s_and_b32 s16, s16, exec_lo
	s_or_b32 s88, s76, s16
	s_mov_b32 s76, 0
	s_and_saveexec_b32 s89, s88
	s_cbranch_execz .LBB2_284
	s_branch .LBB2_283
.LBB2_289:                              ;   in Loop: Header=BB2_286 Depth=4
	s_add_i32 s76, s76, 1
	s_mov_b32 s79, -1
                                        ; implicit-def: $vgpr9
	s_and_saveexec_b32 s89, s88
	s_cbranch_execz .LBB2_284
	s_branch .LBB2_283
.LBB2_290:                              ;   in Loop: Header=BB2_278 Depth=3
	s_or_b32 exec_lo, exec_lo, s27
	s_xor_b32 s16, s28, -1
	s_and_saveexec_b32 s27, s16
	s_xor_b32 s16, exec_lo, s27
	s_cbranch_execz .LBB2_292
; %bb.291:                              ;   in Loop: Header=BB2_278 Depth=3
	v_or_b32_e32 v87, 64, v87
	s_waitcnt vmcnt(0) lgkmcnt(0)
	s_waitcnt_vscnt null, 0x0
	ds_write_b32 v0, v9
	s_trap 2
.LBB2_292:                              ;   in Loop: Header=BB2_278 Depth=3
	s_or_b32 exec_lo, exec_lo, s16
.LBB2_293:                              ;   in Loop: Header=BB2_278 Depth=3
	s_or_b32 exec_lo, exec_lo, s26
	v_and_b32_e32 v9, 0x108, v87
	s_mov_b32 s16, exec_lo
	;;#ASMSTART
	s_wakeup
	;;#ASMEND
	v_cmpx_ne_u32_e32 0x108, v9
	s_xor_b32 s16, exec_lo, s16
                                        ; implicit-def: $vgpr11
; %bb.294:                              ;   in Loop: Header=BB2_278 Depth=3
	v_and_b32_e32 v11, 7, v38
                                        ; implicit-def: $vgpr38_vgpr39
; %bb.295:                              ;   in Loop: Header=BB2_278 Depth=3
	s_andn2_saveexec_b32 s16, s16
	s_cbranch_execz .LBB2_297
; %bb.296:                              ;   in Loop: Header=BB2_278 Depth=3
	v_and_b32_e32 v11, 7, v38
	v_ashrrev_i32_e32 v9, 31, v8
	v_mad_u64_u32 v[38:39], null, v11, 24, v[6:7]
	v_lshlrev_b64 v[64:65], 3, v[8:9]
	flat_store_dwordx2 v[38:39], v[64:65] offset:8
.LBB2_297:                              ;   in Loop: Header=BB2_278 Depth=3
	s_or_b32 exec_lo, exec_lo, s16
	v_and_b32_e32 v9, 0x100, v87
	s_mov_b32 s16, -1
	s_mov_b32 s26, exec_lo
                                        ; implicit-def: $vgpr38_vgpr39
	v_cmpx_ne_u32_e32 0, v9
	s_cbranch_execz .LBB2_301
; %bb.298:                              ;   in Loop: Header=BB2_278 Depth=3
	v_mad_u64_u32 v[64:65], null, v11, 24, v[6:7]
	s_mov_b32 s27, exec_lo
	v_mov_b32_e32 v9, v65
	v_mad_u64_u32 v[38:39], null, v3, 24, v[9:10]
	v_mov_b32_e32 v65, v38
                                        ; implicit-def: $vgpr38_vgpr39
	flat_load_dword v9, v[64:65]
	s_waitcnt vmcnt(0) lgkmcnt(0)
	v_cmp_ne_u32_e32 vcc_lo, 1, v9
	v_cmpx_eq_u32_e32 1, v9
	s_cbranch_execz .LBB2_300
; %bb.299:                              ;   in Loop: Header=BB2_278 Depth=3
	flat_load_dword v38, v[64:65] offset:4 glc dlc
	s_waitcnt vmcnt(0) lgkmcnt(0)
	v_ashrrev_i32_e32 v39, 31, v38
	v_lshrrev_b64 v[38:39], 3, v[38:39]
.LBB2_300:                              ;   in Loop: Header=BB2_278 Depth=3
	s_or_b32 exec_lo, exec_lo, s27
	s_orn2_b32 s16, vcc_lo, exec_lo
.LBB2_301:                              ;   in Loop: Header=BB2_278 Depth=3
	s_or_b32 exec_lo, exec_lo, s26
	s_and_saveexec_b32 s26, s16
; %bb.302:                              ;   in Loop: Header=BB2_278 Depth=3
	v_mul_lo_u32 v9, v3, v96
	v_mul_lo_u32 v64, v11, v30
	v_mad_u64_u32 v[38:39], null, v11, v96, 0
	v_add3_u32 v39, v39, v64, v9
; %bb.303:                              ;   in Loop: Header=BB2_278 Depth=3
	s_or_b32 exec_lo, exec_lo, s26
	v_cmp_eq_u32_e32 vcc_lo, 0, v2
	v_lshlrev_b64 v[38:39], 3, v[38:39]
	v_and_b32_e32 v9, 0x2000, v87
	s_mov_b32 s16, exec_lo
	v_cndmask_b32_e32 v2, 0xc8, v102, vcc_lo
	v_add_co_u32 v38, vcc_lo, v22, v38
	v_add_co_ci_u32_e64 v39, null, v23, v39, vcc_lo
	v_add_nc_u32_e32 v2, v0, v2
	ds_write_b64 v2, v[38:39] offset:584
	v_cmpx_ne_u32_e32 0, v9
	s_cbranch_execz .LBB2_305
; %bb.304:                              ;   in Loop: Header=BB2_278 Depth=3
	ds_read_b64 v[38:39], v0 offset:872
	s_waitcnt lgkmcnt(0)
	v_add_co_u32 v38, vcc_lo, v38, 1
	v_add_co_ci_u32_e64 v39, null, 0, v39, vcc_lo
	ds_write_b64 v0, v[38:39] offset:872
.LBB2_305:                              ;   in Loop: Header=BB2_278 Depth=3
	s_or_b32 exec_lo, exec_lo, s16
	v_mov_b32_e32 v38, v54
	v_mov_b32_e32 v39, v55
.LBB2_306:                              ;   in Loop: Header=BB2_278 Depth=3
	s_or_b32 exec_lo, exec_lo, s17
	s_and_saveexec_b32 s16, s6
	s_cbranch_execz .LBB2_325
; %bb.307:                              ;   in Loop: Header=BB2_278 Depth=3
	s_and_saveexec_b32 s17, s44
	s_xor_b32 s17, exec_lo, s17
	s_cbranch_execz .LBB2_322
; %bb.308:                              ;   in Loop: Header=BB2_278 Depth=3
	s_and_saveexec_b32 s26, s11
	s_cbranch_execz .LBB2_321
; %bb.309:                              ;   in Loop: Header=BB2_278 Depth=3
	s_mov_b32 s28, exec_lo
	s_mov_b32 s27, exec_lo
	v_mbcnt_lo_u32_b32 v2, s28, 0
	s_waitcnt vmcnt(0) lgkmcnt(0)
	s_waitcnt_vscnt null, 0x0
	buffer_gl1_inv
	buffer_gl0_inv
	v_cmpx_eq_u32_e32 0, v2
	s_cbranch_execz .LBB2_311
; %bb.310:                              ;   in Loop: Header=BB2_278 Depth=3
	s_bcnt1_i32_b32 s28, s28
	v_mov_b32_e32 v2, s28
	ds_add_u64 v0, v[2:3]
	s_trap 2
.LBB2_311:                              ;   in Loop: Header=BB2_278 Depth=3
	s_or_b32 exec_lo, exec_lo, s27
	s_trap 2
	ds_read_b64 v[54:55], v0
	s_waitcnt lgkmcnt(0)
	buffer_gl0_inv
	v_add_co_u32 v12, vcc_lo, v12, v97
	v_add_co_ci_u32_e64 v13, null, 0, v13, vcc_lo
	s_mov_b32 s27, exec_lo
	v_cmpx_lt_u64_e64 v[54:55], v[12:13]
	s_cbranch_execz .LBB2_320
; %bb.312:                              ;   in Loop: Header=BB2_278 Depth=3
	s_mov_b32 s28, 0
	s_mov_b32 s76, 0
                                        ; implicit-def: $sgpr29
                                        ; implicit-def: $sgpr75
	s_inst_prefetch 0x1
	s_branch .LBB2_314
	.p2align	6
.LBB2_313:                              ;   in Loop: Header=BB2_314 Depth=4
	s_or_b32 exec_lo, exec_lo, s78
	s_and_b32 s77, exec_lo, s79
	s_or_b32 s28, s77, s28
	s_andn2_b32 s29, s29, exec_lo
	s_and_b32 s77, s75, exec_lo
	s_or_b32 s29, s29, s77
	s_andn2_b32 exec_lo, exec_lo, s28
	s_cbranch_execz .LBB2_318
.LBB2_314:                              ;   Parent Loop BB2_47 Depth=1
                                        ;     Parent Loop BB2_275 Depth=2
                                        ;       Parent Loop BB2_278 Depth=3
                                        ; =>      This Inner Loop Header: Depth=4
	s_add_i32 s76, s76, 1
	s_cmpk_lg_i32 s76, 0x2710
	s_cselect_b32 s77, -1, 0
	s_and_b32 vcc_lo, exec_lo, s77
	s_cbranch_vccz .LBB2_316
; %bb.315:                              ;   in Loop: Header=BB2_314 Depth=4
	s_mov_b32 s79, -1
	s_or_b32 s75, s75, exec_lo
	s_and_saveexec_b32 s78, s77
	s_cbranch_execz .LBB2_313
	s_branch .LBB2_317
	.p2align	6
.LBB2_316:                              ;   in Loop: Header=BB2_314 Depth=4
	s_trap 2
	ds_read_b64 v[54:55], v0
	s_andn2_b32 s77, s77, exec_lo
	s_mov_b32 s76, 0
	s_waitcnt lgkmcnt(0)
	flat_load_dword v2, v[54:55] glc dlc
	s_waitcnt vmcnt(0) lgkmcnt(0)
	buffer_gl1_inv
	buffer_gl0_inv
	v_cmp_eq_u32_e32 vcc_lo, 0, v2
	s_and_b32 s78, vcc_lo, exec_lo
	s_or_b32 s77, s77, s78
	s_mov_b32 s79, -1
	s_or_b32 s75, s75, exec_lo
	s_and_saveexec_b32 s78, s77
	s_cbranch_execz .LBB2_313
.LBB2_317:                              ;   in Loop: Header=BB2_314 Depth=4
	s_sleep 1
	s_trap 2
	ds_read_b64 v[54:55], v0
	s_waitcnt lgkmcnt(0)
	buffer_gl0_inv
	s_andn2_b32 s75, s75, exec_lo
	v_cmp_ge_u64_e32 vcc_lo, v[54:55], v[12:13]
	s_orn2_b32 s79, vcc_lo, exec_lo
	s_branch .LBB2_313
.LBB2_318:                              ;   in Loop: Header=BB2_278 Depth=3
	s_inst_prefetch 0x2
	s_or_b32 exec_lo, exec_lo, s28
	s_and_saveexec_b32 s28, s29
	s_xor_b32 s28, exec_lo, s28
	s_cbranch_execz .LBB2_320
; %bb.319:                              ;   in Loop: Header=BB2_278 Depth=3
	ds_write_b32 v0, v101
	s_trap 2
.LBB2_320:                              ;   in Loop: Header=BB2_278 Depth=3
	s_or_b32 exec_lo, exec_lo, s27
	;;#ASMSTART
	s_wakeup
	;;#ASMEND
.LBB2_321:                              ;   in Loop: Header=BB2_278 Depth=3
	s_or_b32 exec_lo, exec_lo, s26
.LBB2_322:                              ;   in Loop: Header=BB2_278 Depth=3
	s_andn2_saveexec_b32 s17, s17
	s_cbranch_execz .LBB2_324
; %bb.323:                              ;   in Loop: Header=BB2_278 Depth=3
	s_waitcnt vmcnt(0) lgkmcnt(0)
	s_waitcnt_vscnt null, 0x0
	buffer_gl1_inv
	buffer_gl0_inv
	s_barrier
.LBB2_324:                              ;   in Loop: Header=BB2_278 Depth=3
	s_or_b32 exec_lo, exec_lo, s17
.LBB2_325:                              ;   in Loop: Header=BB2_278 Depth=3
	s_or_b32 exec_lo, exec_lo, s16
	s_trap 2
	ds_read_b32 v9, v0
	v_and_b32_e32 v2, 0x4000, v87
	s_xor_b32 s16, s5, -1
	v_cmp_ne_u32_e32 vcc_lo, 0, v2
	s_and_b32 s17, s16, vcc_lo
	s_and_saveexec_b32 s16, s17
	s_cbranch_execz .LBB2_344
; %bb.326:                              ;   in Loop: Header=BB2_278 Depth=3
	s_and_saveexec_b32 s17, s44
	s_xor_b32 s17, exec_lo, s17
	s_cbranch_execz .LBB2_341
; %bb.327:                              ;   in Loop: Header=BB2_278 Depth=3
	s_and_saveexec_b32 s26, s11
	s_cbranch_execz .LBB2_340
; %bb.328:                              ;   in Loop: Header=BB2_278 Depth=3
	s_mov_b32 s28, exec_lo
	s_mov_b32 s27, exec_lo
	v_mbcnt_lo_u32_b32 v2, s28, 0
	s_waitcnt vmcnt(0) lgkmcnt(0)
	s_waitcnt_vscnt null, 0x0
	buffer_gl1_inv
	buffer_gl0_inv
	v_cmpx_eq_u32_e32 0, v2
	s_cbranch_execz .LBB2_330
; %bb.329:                              ;   in Loop: Header=BB2_278 Depth=3
	s_bcnt1_i32_b32 s28, s28
	v_mov_b32_e32 v2, s28
	ds_add_u64 v0, v[2:3]
	s_trap 2
.LBB2_330:                              ;   in Loop: Header=BB2_278 Depth=3
	s_or_b32 exec_lo, exec_lo, s27
	s_trap 2
	ds_read_b64 v[54:55], v0
	s_waitcnt lgkmcnt(0)
	buffer_gl0_inv
	v_add_co_u32 v12, vcc_lo, v12, v97
	v_add_co_ci_u32_e64 v13, null, 0, v13, vcc_lo
	s_mov_b32 s27, exec_lo
	v_cmpx_lt_u64_e64 v[54:55], v[12:13]
	s_cbranch_execz .LBB2_339
; %bb.331:                              ;   in Loop: Header=BB2_278 Depth=3
	s_mov_b32 s28, 0
	s_mov_b32 s76, 0
                                        ; implicit-def: $sgpr29
                                        ; implicit-def: $sgpr75
	s_inst_prefetch 0x1
	s_branch .LBB2_333
	.p2align	6
.LBB2_332:                              ;   in Loop: Header=BB2_333 Depth=4
	s_or_b32 exec_lo, exec_lo, s78
	s_and_b32 s77, exec_lo, s79
	s_or_b32 s28, s77, s28
	s_andn2_b32 s29, s29, exec_lo
	s_and_b32 s77, s75, exec_lo
	s_or_b32 s29, s29, s77
	s_andn2_b32 exec_lo, exec_lo, s28
	s_cbranch_execz .LBB2_337
.LBB2_333:                              ;   Parent Loop BB2_47 Depth=1
                                        ;     Parent Loop BB2_275 Depth=2
                                        ;       Parent Loop BB2_278 Depth=3
                                        ; =>      This Inner Loop Header: Depth=4
	s_add_i32 s76, s76, 1
	s_cmpk_lg_i32 s76, 0x2710
	s_cselect_b32 s77, -1, 0
	s_and_b32 vcc_lo, exec_lo, s77
	s_cbranch_vccz .LBB2_335
; %bb.334:                              ;   in Loop: Header=BB2_333 Depth=4
	s_mov_b32 s79, -1
	s_or_b32 s75, s75, exec_lo
	s_and_saveexec_b32 s78, s77
	s_cbranch_execz .LBB2_332
	s_branch .LBB2_336
	.p2align	6
.LBB2_335:                              ;   in Loop: Header=BB2_333 Depth=4
	s_trap 2
	ds_read_b64 v[54:55], v0
	s_andn2_b32 s77, s77, exec_lo
	s_mov_b32 s76, 0
	s_waitcnt lgkmcnt(0)
	flat_load_dword v2, v[54:55] glc dlc
	s_waitcnt vmcnt(0) lgkmcnt(0)
	buffer_gl1_inv
	buffer_gl0_inv
	v_cmp_eq_u32_e32 vcc_lo, 0, v2
	s_and_b32 s78, vcc_lo, exec_lo
	s_or_b32 s77, s77, s78
	s_mov_b32 s79, -1
	s_or_b32 s75, s75, exec_lo
	s_and_saveexec_b32 s78, s77
	s_cbranch_execz .LBB2_332
.LBB2_336:                              ;   in Loop: Header=BB2_333 Depth=4
	s_sleep 1
	s_trap 2
	ds_read_b64 v[54:55], v0
	s_waitcnt lgkmcnt(0)
	buffer_gl0_inv
	s_andn2_b32 s75, s75, exec_lo
	v_cmp_ge_u64_e32 vcc_lo, v[54:55], v[12:13]
	s_orn2_b32 s79, vcc_lo, exec_lo
	s_branch .LBB2_332
.LBB2_337:                              ;   in Loop: Header=BB2_278 Depth=3
	s_inst_prefetch 0x2
	s_or_b32 exec_lo, exec_lo, s28
	s_and_saveexec_b32 s28, s29
	s_xor_b32 s28, exec_lo, s28
	s_cbranch_execz .LBB2_339
; %bb.338:                              ;   in Loop: Header=BB2_278 Depth=3
	ds_write_b32 v0, v101
	s_trap 2
.LBB2_339:                              ;   in Loop: Header=BB2_278 Depth=3
	s_or_b32 exec_lo, exec_lo, s27
	;;#ASMSTART
	s_wakeup
	;;#ASMEND
.LBB2_340:                              ;   in Loop: Header=BB2_278 Depth=3
	s_or_b32 exec_lo, exec_lo, s26
.LBB2_341:                              ;   in Loop: Header=BB2_278 Depth=3
	s_andn2_saveexec_b32 s17, s17
	s_cbranch_execz .LBB2_343
; %bb.342:                              ;   in Loop: Header=BB2_278 Depth=3
	s_waitcnt vmcnt(0) lgkmcnt(0)
	s_waitcnt_vscnt null, 0x0
	buffer_gl1_inv
	buffer_gl0_inv
	s_barrier
.LBB2_343:                              ;   in Loop: Header=BB2_278 Depth=3
	s_or_b32 exec_lo, exec_lo, s17
.LBB2_344:                              ;   in Loop: Header=BB2_278 Depth=3
	s_or_b32 exec_lo, exec_lo, s16
	s_trap 2
	ds_read_b64 v[54:55], v0
	s_waitcnt lgkmcnt(0)
	v_cmp_eq_u64_e32 vcc_lo, 0, v[54:55]
	s_cbranch_vccnz .LBB2_352
; %bb.345:                              ;   in Loop: Header=BB2_278 Depth=3
	s_trap 2
	ds_read_b64 v[64:65], v0
	s_waitcnt lgkmcnt(0)
	v_cmp_eq_u64_e32 vcc_lo, 0, v[64:65]
	s_cbranch_vccnz .LBB2_352
; %bb.346:                              ;   in Loop: Header=BB2_278 Depth=3
	s_mov_b32 s16, -1
	s_and_saveexec_b32 s17, s14
	s_cbranch_execz .LBB2_348
; %bb.347:                              ;   in Loop: Header=BB2_278 Depth=3
	ds_read_b32 v2, v0 offset:720
	s_waitcnt lgkmcnt(0)
	v_and_b32_e32 v2, 15, v2
	v_cmp_eq_u32_e32 vcc_lo, 0, v2
	s_orn2_b32 s16, vcc_lo, exec_lo
.LBB2_348:                              ;   in Loop: Header=BB2_278 Depth=3
	s_or_b32 exec_lo, exec_lo, s17
	s_and_saveexec_b32 s17, s13
	s_cbranch_execz .LBB2_350
; %bb.349:                              ;   in Loop: Header=BB2_278 Depth=3
	ds_read_b32 v2, v0 offset:784
	s_waitcnt lgkmcnt(0)
	v_and_b32_e32 v2, 15, v2
	v_cmp_eq_u32_e32 vcc_lo, 0, v2
	s_and_b32 s26, s16, vcc_lo
	s_andn2_b32 s16, s16, exec_lo
	s_and_b32 s26, s26, exec_lo
	s_or_b32 s16, s16, s26
.LBB2_350:                              ;   in Loop: Header=BB2_278 Depth=3
	s_or_b32 exec_lo, exec_lo, s17
	v_cmp_eq_u32_e32 vcc_lo, 0, v9
	s_xor_b32 s16, s16, -1
	s_mov_b32 s17, -1
	v_cndmask_b32_e64 v11, 0, 1, s16
	v_cndmask_b32_e32 v2, 0, v8, vcc_lo
	v_cmp_ne_u32_e32 vcc_lo, 0, v11
	v_mov_b32_e32 v11, 0
	v_lshlrev_b32_e32 v9, 3, v2
	s_cbranch_vccz .LBB2_357
; %bb.351:                              ;   in Loop: Header=BB2_278 Depth=3
	v_mov_b32_e32 v66, v0
	v_mov_b32_e32 v81, v98
	s_and_saveexec_b32 s26, s17
	s_cbranch_execnz .LBB2_370
	s_branch .LBB2_378
.LBB2_352:                              ;   in Loop: Header=BB2_278 Depth=3
	s_mov_b32 s16, 0
	s_and_saveexec_b32 s17, s6
	s_cbranch_execnz .LBB2_379
.LBB2_353:                              ;   in Loop: Header=BB2_278 Depth=3
	s_or_b32 exec_lo, exec_lo, s17
                                        ; implicit-def: $vgpr2
	s_and_saveexec_b32 s17, s15
	s_xor_b32 s17, exec_lo, s17
	s_cbranch_execz .LBB2_397
.LBB2_354:                              ;   in Loop: Header=BB2_278 Depth=3
	v_and_b32_e32 v2, 16, v87
	v_cmp_ne_u32_e32 vcc_lo, 0, v2
	v_and_b32_e32 v2, 16, v87
	s_and_b32 s26, vcc_lo, s16
	s_and_saveexec_b32 s16, s26
	s_cbranch_execz .LBB2_356
; %bb.355:                              ;   in Loop: Header=BB2_278 Depth=3
	v_mov_b32_e32 v2, 1
	s_waitcnt vmcnt(0) lgkmcnt(0)
	s_waitcnt_vscnt null, 0x0
	buffer_gl1_inv
	buffer_gl0_inv
.LBB2_356:                              ;   in Loop: Header=BB2_278 Depth=3
	s_or_b32 exec_lo, exec_lo, s16
	s_andn2_saveexec_b32 s16, s17
	s_cbranch_execz .LBB2_416
	s_branch .LBB2_398
.LBB2_357:                              ;   in Loop: Header=BB2_278 Depth=3
	v_ashrrev_i32_e32 v11, 31, v9
	s_mov_b32 s26, exec_lo
	v_lshrrev_b32_e32 v11, 23, v11
	v_add_nc_u32_e32 v11, v9, v11
	v_and_b32_e32 v82, 0xfffffe00, v11
	v_ashrrev_i32_e32 v11, 9, v11
	v_sub_nc_u32_e32 v84, v9, v82
	v_sub_nc_u32_e32 v66, v11, v99
	v_sub_nc_u32_e32 v11, v9, v100
	v_cmp_lt_i32_e32 vcc_lo, 15, v84
	v_add_co_ci_u32_e64 v85, null, 0, v66, vcc_lo
	v_cmpx_lt_i32_e32 15, v11
	s_cbranch_execz .LBB2_361
; %bb.358:                              ;   in Loop: Header=BB2_278 Depth=3
	s_trap 2
	ds_read_b64 v[68:69], v0
	v_add_co_u32 v66, s16, v54, v100
	v_add_co_ci_u32_e64 v67, null, 0, v55, s16
	s_mov_b32 s27, 0
	s_waitcnt lgkmcnt(0)
	v_add_co_u32 v68, s16, v68, v100
	v_add_co_ci_u32_e64 v69, null, 0, v69, s16
	v_add_co_u32 v70, s16, v64, v100
	v_add_co_ci_u32_e64 v71, null, 0, v65, s16
	s_inst_prefetch 0x1
	.p2align	6
.LBB2_359:                              ;   Parent Loop BB2_47 Depth=1
                                        ;     Parent Loop BB2_275 Depth=2
                                        ;       Parent Loop BB2_278 Depth=3
                                        ; =>      This Inner Loop Header: Depth=4
	global_load_dwordx4 v[56:59], v[66:67], off slc
	global_load_dwordx4 v[60:63], v[68:69], off slc
	v_sub_nc_u32_e32 v11, v11, v113
	v_add_co_u32 v66, s16, v66, v113
	v_add_co_ci_u32_e64 v67, null, 0, v67, s16
	v_add_co_u32 v68, s16, v68, v113
	v_add_co_ci_u32_e64 v69, null, 0, v69, s16
	v_cmp_gt_i32_e64 s16, 16, v11
	v_sub_nc_u32_e32 v85, v85, v97
	s_or_b32 s27, s16, s27
	s_waitcnt vmcnt(0)
	v_add_co_u32 v56, s17, v60, v56
	v_add_co_ci_u32_e64 v57, null, v61, v57, s17
	v_add_co_u32 v58, s17, v62, v58
	v_add_co_ci_u32_e64 v59, null, v63, v59, s17
	global_store_dwordx4 v[70:71], v[56:59], off glc slc
	v_add_co_u32 v70, s17, v70, v113
	v_add_co_ci_u32_e64 v71, null, 0, v71, s17
	s_andn2_b32 exec_lo, exec_lo, s27
	s_cbranch_execnz .LBB2_359
; %bb.360:                              ;   in Loop: Header=BB2_278 Depth=3
	s_inst_prefetch 0x2
	s_or_b32 exec_lo, exec_lo, s27
.LBB2_361:                              ;   in Loop: Header=BB2_278 Depth=3
	s_or_b32 exec_lo, exec_lo, s26
	v_and_b32_e32 v67, 8, v9
	v_mov_b32_e32 v11, 0
	s_mov_b32 s17, 0
	s_mov_b32 s26, exec_lo
                                        ; implicit-def: $vgpr9
                                        ; implicit-def: $vgpr66
                                        ; implicit-def: $vgpr81
	v_cndmask_b32_e32 v83, v84, v67, vcc_lo
	v_cmpx_ne_u32_e32 0, v83
	s_cbranch_execz .LBB2_369
; %bb.362:                              ;   in Loop: Header=BB2_278 Depth=3
	v_cmp_lt_i32_e64 s16, 0, v85
	v_ashrrev_i32_e32 v66, 31, v83
	v_sub_nc_u32_e32 v67, v84, v67
	s_mov_b32 s27, exec_lo
	v_cndmask_b32_e64 v9, 0, v97, s16
	v_lshrrev_b32_e32 v66, 23, v66
	v_cndmask_b32_e32 v67, 0, v67, vcc_lo
	v_sub_nc_u32_e32 v9, v9, v85
	v_add_nc_u32_e32 v66, v83, v66
	v_add_nc_u32_e32 v82, v67, v82
	v_lshl_or_b32 v9, v9, 5, v98
	v_and_b32_e32 v85, 0xfffffe00, v66
	v_ashrrev_i32_e32 v66, 9, v66
	v_ashrrev_i32_e32 v11, 31, v9
	v_sub_nc_u32_e32 v84, v83, v85
	v_lshrrev_b32_e32 v11, 27, v11
	v_cmp_lt_i32_e32 vcc_lo, 15, v84
	v_add_nc_u32_e32 v11, v9, v11
	v_add_co_ci_u32_e64 v66, null, 0, v66, vcc_lo
	v_and_b32_e32 v68, 0xffffffe0, v11
	v_sub_nc_u32_e32 v56, v9, v68
	v_ashrrev_i32_e32 v68, 5, v11
	v_lshlrev_b32_e32 v9, 4, v56
	v_sub_nc_u32_e32 v57, v66, v68
	v_lshl_add_u32 v11, v68, 9, v9
	v_sub_nc_u32_e32 v9, v83, v11
	v_cmpx_lt_i32_e32 15, v9
	s_cbranch_execz .LBB2_366
; %bb.363:                              ;   in Loop: Header=BB2_278 Depth=3
	s_trap 2
	ds_read_b64 v[68:69], v0
	v_add_nc_u32_e32 v11, v11, v82
	s_mov_b32 s28, 0
	v_ashrrev_i32_e32 v71, 31, v11
	v_add_co_u32 v66, s16, v11, v54
	v_add_co_ci_u32_e64 v67, null, v71, v55, s16
	s_waitcnt lgkmcnt(0)
	v_add_co_u32 v68, s16, v68, v11
	v_add_co_ci_u32_e64 v69, null, v69, v71, s16
	v_add_co_u32 v70, s16, v11, v64
	v_add_co_ci_u32_e64 v71, null, v71, v65, s16
	s_inst_prefetch 0x1
	.p2align	6
.LBB2_364:                              ;   Parent Loop BB2_47 Depth=1
                                        ;     Parent Loop BB2_275 Depth=2
                                        ;       Parent Loop BB2_278 Depth=3
                                        ; =>      This Inner Loop Header: Depth=4
	global_load_dwordx4 v[58:61], v[66:67], off slc
	global_load_dwordx4 v[72:75], v[68:69], off slc
	v_sub_nc_u32_e32 v9, v9, v113
	v_add_co_u32 v66, s16, v66, v113
	v_add_co_ci_u32_e64 v67, null, 0, v67, s16
	v_add_co_u32 v68, s16, v68, v113
	v_add_co_ci_u32_e64 v69, null, 0, v69, s16
	v_cmp_gt_i32_e64 s16, 16, v9
	v_sub_nc_u32_e32 v57, v57, v97
	s_or_b32 s28, s16, s28
	s_waitcnt vmcnt(0)
	v_add_co_u32 v58, s17, v72, v58
	v_add_co_ci_u32_e64 v59, null, v73, v59, s17
	v_add_co_u32 v60, s17, v74, v60
	v_add_co_ci_u32_e64 v61, null, v75, v61, s17
	global_store_dwordx4 v[70:71], v[58:61], off glc slc
	v_add_co_u32 v70, s17, v70, v113
	v_add_co_ci_u32_e64 v71, null, 0, v71, s17
	s_andn2_b32 exec_lo, exec_lo, s28
	s_cbranch_execnz .LBB2_364
; %bb.365:                              ;   in Loop: Header=BB2_278 Depth=3
	s_inst_prefetch 0x2
	s_or_b32 exec_lo, exec_lo, s28
.LBB2_366:                              ;   in Loop: Header=BB2_278 Depth=3
	s_or_b32 exec_lo, exec_lo, s27
	v_and_b32_e32 v67, 8, v83
	v_mov_b32_e32 v11, 0
	s_mov_b32 s17, 0
	s_mov_b32 s27, exec_lo
                                        ; implicit-def: $vgpr66
                                        ; implicit-def: $vgpr81
	v_cndmask_b32_e32 v9, v84, v67, vcc_lo
	v_cmpx_ne_u32_e32 0, v9
	s_cbranch_execz .LBB2_368
; %bb.367:                              ;   in Loop: Header=BB2_278 Depth=3
	v_cmp_lt_i32_e64 s16, 0, v57
	v_sub_nc_u32_e32 v67, v84, v67
	s_mov_b32 s17, exec_lo
	v_cndmask_b32_e64 v11, 0, v97, s16
	v_cndmask_b32_e32 v67, 0, v67, vcc_lo
	v_sub_nc_u32_e32 v11, v11, v57
	v_lshl_add_u32 v66, v11, 5, v56
	v_ashrrev_i32_e32 v11, 31, v66
	v_lshrrev_b32_e32 v11, 27, v11
	v_add_nc_u32_e32 v11, v66, v11
	v_and_b32_e32 v68, 0xffffffe0, v11
	v_add3_u32 v11, v85, v82, v67
	v_sub_nc_u32_e32 v81, v66, v68
.LBB2_368:                              ;   in Loop: Header=BB2_278 Depth=3
	s_or_b32 exec_lo, exec_lo, s27
	s_and_b32 s17, s17, exec_lo
.LBB2_369:                              ;   in Loop: Header=BB2_278 Depth=3
	s_or_b32 exec_lo, exec_lo, s26
	s_and_saveexec_b32 s26, s17
	s_cbranch_execz .LBB2_378
.LBB2_370:                              ;   in Loop: Header=BB2_278 Depth=3
	v_ashrrev_i32_e32 v67, 31, v66
	v_ashrrev_i32_e32 v68, 31, v9
	s_mov_b32 s27, exec_lo
	v_lshrrev_b32_e32 v67, 27, v67
	v_add_nc_u32_e32 v66, v66, v67
	v_add_nc_u32_sdwa v67, v9, v68 dst_sel:DWORD dst_unused:UNUSED_PAD src0_sel:DWORD src1_sel:BYTE_3
	v_ashrrev_i32_e32 v68, 5, v66
	v_and_b32_e32 v82, 0xffffff00, v67
	v_lshlrev_b32_e32 v66, 3, v81
	v_ashrrev_i32_e32 v67, 8, v67
	v_sub_nc_u32_e32 v83, v9, v82
	v_lshl_add_u32 v66, v68, 8, v66
	v_sub_nc_u32_e32 v67, v67, v68
	v_cmp_lt_i32_e32 vcc_lo, 7, v83
	v_sub_nc_u32_e32 v85, v9, v66
	v_add_co_ci_u32_e64 v84, null, 0, v67, vcc_lo
	v_cmpx_lt_i32_e32 7, v85
	s_cbranch_execz .LBB2_374
; %bb.371:                              ;   in Loop: Header=BB2_278 Depth=3
	s_trap 2
	ds_read_b64 v[68:69], v0
	v_add_nc_u32_e32 v70, v66, v11
	s_mov_b32 s28, 0
	v_ashrrev_i32_e32 v71, 31, v70
	v_add_co_u32 v66, s16, v70, v54
	v_add_co_ci_u32_e64 v67, null, v71, v55, s16
	s_waitcnt lgkmcnt(0)
	v_add_co_u32 v68, s16, v68, v70
	v_add_co_ci_u32_e64 v69, null, v69, v71, s16
	v_add_co_u32 v70, s16, v70, v64
	v_add_co_ci_u32_e64 v71, null, v71, v65, s16
	.p2align	6
.LBB2_372:                              ;   Parent Loop BB2_47 Depth=1
                                        ;     Parent Loop BB2_275 Depth=2
                                        ;       Parent Loop BB2_278 Depth=3
                                        ; =>      This Inner Loop Header: Depth=4
	flat_load_dwordx2 v[56:57], v[66:67] slc
	flat_load_dwordx2 v[58:59], v[68:69] slc
	v_sub_nc_u32_e32 v85, v85, v114
	v_add_co_u32 v66, s16, v66, v114
	v_add_co_ci_u32_e64 v67, null, 0, v67, s16
	v_add_co_u32 v68, s16, v68, v114
	v_add_co_ci_u32_e64 v69, null, 0, v69, s16
	v_cmp_gt_i32_e64 s16, 8, v85
	v_sub_nc_u32_e32 v84, v84, v97
	s_or_b32 s28, s16, s28
	s_waitcnt vmcnt(0) lgkmcnt(0)
	v_add_co_u32 v56, s17, v58, v56
	v_add_co_ci_u32_e64 v57, null, v59, v57, s17
	flat_store_dwordx2 v[70:71], v[56:57] glc slc
	v_add_co_u32 v70, s17, v70, v114
	v_add_co_ci_u32_e64 v71, null, 0, v71, s17
	s_andn2_b32 exec_lo, exec_lo, s28
	s_cbranch_execnz .LBB2_372
; %bb.373:                              ;   in Loop: Header=BB2_278 Depth=3
	s_or_b32 exec_lo, exec_lo, s28
.LBB2_374:                              ;   in Loop: Header=BB2_278 Depth=3
	s_or_b32 exec_lo, exec_lo, s27
	v_and_b32_e32 v66, 7, v9
	v_cndmask_b32_e32 v9, v83, v66, vcc_lo
	v_cmp_ne_u32_e64 s16, 0, v9
	s_and_b32 exec_lo, exec_lo, s16
	s_cbranch_execz .LBB2_378
; %bb.375:                              ;   in Loop: Header=BB2_278 Depth=3
	v_cmp_lt_i32_e64 s16, 0, v84
	v_cndmask_b32_e64 v67, 0, v97, s16
	v_sub_nc_u32_e32 v67, v67, v84
	v_lshl_add_u32 v67, v67, 5, v81
	v_ashrrev_i32_e32 v68, 31, v67
	v_lshrrev_b32_e32 v68, 27, v68
	v_add_nc_u32_e32 v68, v67, v68
	v_and_b32_e32 v69, 0x1fffffe0, v68
	v_lshlrev_b32_e32 v68, 3, v68
	v_sub_nc_u32_e32 v67, v67, v69
	v_and_b32_e32 v68, 0xffffff00, v68
	v_lshl_add_u32 v67, v67, 3, v68
	v_sub_nc_u32_e32 v9, v9, v67
	v_cmp_lt_i32_e64 s16, 7, v9
	s_and_b32 exec_lo, exec_lo, s16
	s_cbranch_execz .LBB2_378
; %bb.376:                              ;   in Loop: Header=BB2_278 Depth=3
	v_sub_nc_u32_e32 v66, v83, v66
	s_trap 2
	ds_read_b64 v[68:69], v0
	v_add_nc_u32_e32 v11, v82, v11
	s_mov_b32 s17, 0
	v_cndmask_b32_e32 v66, 0, v66, vcc_lo
	v_add3_u32 v11, v11, v66, v67
	v_ashrrev_i32_e32 v70, 31, v11
	v_add_co_u32 v54, vcc_lo, v11, v54
	v_add_co_ci_u32_e64 v55, null, v70, v55, vcc_lo
	s_waitcnt lgkmcnt(0)
	v_add_co_u32 v66, vcc_lo, v68, v11
	v_add_co_ci_u32_e64 v67, null, v69, v70, vcc_lo
	v_add_co_u32 v64, vcc_lo, v11, v64
	v_add_co_ci_u32_e64 v65, null, v70, v65, vcc_lo
	.p2align	6
.LBB2_377:                              ;   Parent Loop BB2_47 Depth=1
                                        ;     Parent Loop BB2_275 Depth=2
                                        ;       Parent Loop BB2_278 Depth=3
                                        ; =>      This Inner Loop Header: Depth=4
	flat_load_dwordx2 v[68:69], v[54:55] slc
	flat_load_dwordx2 v[70:71], v[66:67] slc
	v_sub_nc_u32_e32 v9, v9, v115
	v_add_co_u32 v54, vcc_lo, v54, v115
	v_add_co_ci_u32_e64 v55, null, 0, v55, vcc_lo
	v_add_co_u32 v66, vcc_lo, v66, v115
	v_add_co_ci_u32_e64 v67, null, 0, v67, vcc_lo
	v_cmp_gt_i32_e32 vcc_lo, 8, v9
	s_or_b32 s17, vcc_lo, s17
	s_waitcnt vmcnt(0) lgkmcnt(0)
	v_add_co_u32 v68, s16, v70, v68
	v_add_co_ci_u32_e64 v69, null, v71, v69, s16
	flat_store_dwordx2 v[64:65], v[68:69] glc slc
	v_add_co_u32 v64, s16, v64, v115
	v_add_co_ci_u32_e64 v65, null, 0, v65, s16
	s_andn2_b32 exec_lo, exec_lo, s17
	s_cbranch_execnz .LBB2_377
.LBB2_378:                              ;   in Loop: Header=BB2_278 Depth=3
	s_or_b32 exec_lo, exec_lo, s26
	v_cmp_lt_i32_e64 s16, 0, v2
	s_and_saveexec_b32 s17, s6
	s_cbranch_execz .LBB2_353
.LBB2_379:                              ;   in Loop: Header=BB2_278 Depth=3
	s_and_saveexec_b32 s26, s44
	s_xor_b32 s26, exec_lo, s26
	s_cbranch_execz .LBB2_394
; %bb.380:                              ;   in Loop: Header=BB2_278 Depth=3
	s_and_saveexec_b32 s27, s11
	s_cbranch_execz .LBB2_393
; %bb.381:                              ;   in Loop: Header=BB2_278 Depth=3
	s_mov_b32 s29, exec_lo
	s_mov_b32 s28, exec_lo
	v_mbcnt_lo_u32_b32 v2, s29, 0
	s_waitcnt vmcnt(0) lgkmcnt(0)
	s_waitcnt_vscnt null, 0x0
	buffer_gl1_inv
	buffer_gl0_inv
	v_cmpx_eq_u32_e32 0, v2
	s_cbranch_execz .LBB2_383
; %bb.382:                              ;   in Loop: Header=BB2_278 Depth=3
	s_bcnt1_i32_b32 s29, s29
	v_mov_b32_e32 v2, s29
	ds_add_u64 v0, v[2:3]
	s_trap 2
.LBB2_383:                              ;   in Loop: Header=BB2_278 Depth=3
	s_or_b32 exec_lo, exec_lo, s28
	s_trap 2
	ds_read_b64 v[54:55], v0
	s_waitcnt lgkmcnt(0)
	buffer_gl0_inv
	v_add_co_u32 v12, vcc_lo, v12, v97
	v_add_co_ci_u32_e64 v13, null, 0, v13, vcc_lo
	s_mov_b32 s28, exec_lo
	v_cmpx_lt_u64_e64 v[54:55], v[12:13]
	s_cbranch_execz .LBB2_392
; %bb.384:                              ;   in Loop: Header=BB2_278 Depth=3
	s_mov_b32 s29, 0
	s_mov_b32 s77, 0
                                        ; implicit-def: $sgpr75
                                        ; implicit-def: $sgpr76
	s_inst_prefetch 0x1
	s_branch .LBB2_386
	.p2align	6
.LBB2_385:                              ;   in Loop: Header=BB2_386 Depth=4
	s_or_b32 exec_lo, exec_lo, s79
	s_and_b32 s78, exec_lo, s88
	s_or_b32 s29, s78, s29
	s_andn2_b32 s75, s75, exec_lo
	s_and_b32 s78, s76, exec_lo
	s_or_b32 s75, s75, s78
	s_andn2_b32 exec_lo, exec_lo, s29
	s_cbranch_execz .LBB2_390
.LBB2_386:                              ;   Parent Loop BB2_47 Depth=1
                                        ;     Parent Loop BB2_275 Depth=2
                                        ;       Parent Loop BB2_278 Depth=3
                                        ; =>      This Inner Loop Header: Depth=4
	s_add_i32 s77, s77, 1
	s_cmpk_lg_i32 s77, 0x2710
	s_cselect_b32 s78, -1, 0
	s_and_b32 vcc_lo, exec_lo, s78
	s_cbranch_vccz .LBB2_388
; %bb.387:                              ;   in Loop: Header=BB2_386 Depth=4
	s_mov_b32 s88, -1
	s_or_b32 s76, s76, exec_lo
	s_and_saveexec_b32 s79, s78
	s_cbranch_execz .LBB2_385
	s_branch .LBB2_389
	.p2align	6
.LBB2_388:                              ;   in Loop: Header=BB2_386 Depth=4
	s_trap 2
	ds_read_b64 v[54:55], v0
	s_andn2_b32 s78, s78, exec_lo
	s_mov_b32 s77, 0
	s_waitcnt lgkmcnt(0)
	flat_load_dword v2, v[54:55] glc dlc
	s_waitcnt vmcnt(0) lgkmcnt(0)
	buffer_gl1_inv
	buffer_gl0_inv
	v_cmp_eq_u32_e32 vcc_lo, 0, v2
	s_and_b32 s79, vcc_lo, exec_lo
	s_or_b32 s78, s78, s79
	s_mov_b32 s88, -1
	s_or_b32 s76, s76, exec_lo
	s_and_saveexec_b32 s79, s78
	s_cbranch_execz .LBB2_385
.LBB2_389:                              ;   in Loop: Header=BB2_386 Depth=4
	s_sleep 1
	s_trap 2
	ds_read_b64 v[54:55], v0
	s_waitcnt lgkmcnt(0)
	buffer_gl0_inv
	s_andn2_b32 s76, s76, exec_lo
	v_cmp_ge_u64_e32 vcc_lo, v[54:55], v[12:13]
	s_orn2_b32 s88, vcc_lo, exec_lo
	s_branch .LBB2_385
.LBB2_390:                              ;   in Loop: Header=BB2_278 Depth=3
	s_inst_prefetch 0x2
	s_or_b32 exec_lo, exec_lo, s29
	s_and_saveexec_b32 s29, s75
	s_xor_b32 s29, exec_lo, s29
	s_cbranch_execz .LBB2_392
; %bb.391:                              ;   in Loop: Header=BB2_278 Depth=3
	ds_write_b32 v0, v101
	s_trap 2
.LBB2_392:                              ;   in Loop: Header=BB2_278 Depth=3
	s_or_b32 exec_lo, exec_lo, s28
	;;#ASMSTART
	s_wakeup
	;;#ASMEND
.LBB2_393:                              ;   in Loop: Header=BB2_278 Depth=3
	s_or_b32 exec_lo, exec_lo, s27
.LBB2_394:                              ;   in Loop: Header=BB2_278 Depth=3
	s_andn2_saveexec_b32 s26, s26
	s_cbranch_execz .LBB2_396
; %bb.395:                              ;   in Loop: Header=BB2_278 Depth=3
	s_waitcnt vmcnt(0) lgkmcnt(0)
	s_waitcnt_vscnt null, 0x0
	buffer_gl1_inv
	buffer_gl0_inv
	s_barrier
.LBB2_396:                              ;   in Loop: Header=BB2_278 Depth=3
	s_or_b32 exec_lo, exec_lo, s26
	s_or_b32 exec_lo, exec_lo, s17
                                        ; implicit-def: $vgpr2
	s_and_saveexec_b32 s17, s15
	s_xor_b32 s17, exec_lo, s17
	s_cbranch_execnz .LBB2_354
.LBB2_397:                              ;   in Loop: Header=BB2_278 Depth=3
	s_andn2_saveexec_b32 s16, s17
	s_cbranch_execz .LBB2_416
.LBB2_398:                              ;   in Loop: Header=BB2_278 Depth=3
	s_and_saveexec_b32 s17, s44
	s_xor_b32 s17, exec_lo, s17
	s_cbranch_execz .LBB2_413
; %bb.399:                              ;   in Loop: Header=BB2_278 Depth=3
	s_and_saveexec_b32 s26, s11
	s_cbranch_execz .LBB2_412
; %bb.400:                              ;   in Loop: Header=BB2_278 Depth=3
	s_mov_b32 s28, exec_lo
	s_mov_b32 s27, exec_lo
	v_mbcnt_lo_u32_b32 v2, s28, 0
	;;#ASMSTART
	s_waitcnt lgkmcnt(0) vmcnt(0)
	;;#ASMEND
	v_cmpx_eq_u32_e32 0, v2
	s_cbranch_execz .LBB2_402
; %bb.401:                              ;   in Loop: Header=BB2_278 Depth=3
	s_bcnt1_i32_b32 s28, s28
	v_mov_b32_e32 v2, s28
	s_waitcnt vmcnt(0) lgkmcnt(0)
	s_waitcnt_vscnt null, 0x0
	ds_add_u64 v0, v[2:3]
	s_trap 2
.LBB2_402:                              ;   in Loop: Header=BB2_278 Depth=3
	s_or_b32 exec_lo, exec_lo, s27
	s_trap 2
	ds_read_b64 v[54:55], v0
	s_waitcnt vmcnt(0) lgkmcnt(0)
	buffer_gl0_inv
	v_add_co_u32 v12, vcc_lo, v12, v97
	v_add_co_ci_u32_e64 v13, null, 0, v13, vcc_lo
	s_mov_b32 s27, exec_lo
	v_cmpx_lt_u64_e64 v[54:55], v[12:13]
	s_cbranch_execz .LBB2_411
; %bb.403:                              ;   in Loop: Header=BB2_278 Depth=3
	s_mov_b32 s28, 0
	s_mov_b32 s76, 0
                                        ; implicit-def: $sgpr29
                                        ; implicit-def: $sgpr75
	s_inst_prefetch 0x1
	s_branch .LBB2_405
	.p2align	6
.LBB2_404:                              ;   in Loop: Header=BB2_405 Depth=4
	s_or_b32 exec_lo, exec_lo, s78
	s_and_b32 s77, exec_lo, s79
	s_or_b32 s28, s77, s28
	s_andn2_b32 s29, s29, exec_lo
	s_and_b32 s77, s75, exec_lo
	s_or_b32 s29, s29, s77
	s_andn2_b32 exec_lo, exec_lo, s28
	s_cbranch_execz .LBB2_409
.LBB2_405:                              ;   Parent Loop BB2_47 Depth=1
                                        ;     Parent Loop BB2_275 Depth=2
                                        ;       Parent Loop BB2_278 Depth=3
                                        ; =>      This Inner Loop Header: Depth=4
	s_add_i32 s76, s76, 1
	s_cmpk_lg_i32 s76, 0x2710
	s_cselect_b32 s77, -1, 0
	s_and_b32 vcc_lo, exec_lo, s77
	s_cbranch_vccz .LBB2_407
; %bb.406:                              ;   in Loop: Header=BB2_405 Depth=4
	s_mov_b32 s79, -1
	s_or_b32 s75, s75, exec_lo
	s_and_saveexec_b32 s78, s77
	s_cbranch_execz .LBB2_404
	s_branch .LBB2_408
	.p2align	6
.LBB2_407:                              ;   in Loop: Header=BB2_405 Depth=4
	s_trap 2
	ds_read_b64 v[54:55], v0
	s_andn2_b32 s77, s77, exec_lo
	s_mov_b32 s76, 0
	s_waitcnt lgkmcnt(0)
	s_waitcnt_vscnt null, 0x0
	flat_load_dword v2, v[54:55] glc dlc
	s_waitcnt vmcnt(0) lgkmcnt(0)
	buffer_gl1_inv
	buffer_gl0_inv
	v_cmp_eq_u32_e32 vcc_lo, 0, v2
	s_and_b32 s78, vcc_lo, exec_lo
	s_or_b32 s77, s77, s78
	s_mov_b32 s79, -1
	s_or_b32 s75, s75, exec_lo
	s_and_saveexec_b32 s78, s77
	s_cbranch_execz .LBB2_404
.LBB2_408:                              ;   in Loop: Header=BB2_405 Depth=4
	s_sleep 1
	s_trap 2
	ds_read_b64 v[54:55], v0
	s_waitcnt lgkmcnt(0)
	buffer_gl0_inv
	s_andn2_b32 s75, s75, exec_lo
	v_cmp_ge_u64_e32 vcc_lo, v[54:55], v[12:13]
	s_orn2_b32 s79, vcc_lo, exec_lo
	s_branch .LBB2_404
.LBB2_409:                              ;   in Loop: Header=BB2_278 Depth=3
	s_inst_prefetch 0x2
	s_or_b32 exec_lo, exec_lo, s28
	s_and_saveexec_b32 s28, s29
	s_xor_b32 s28, exec_lo, s28
	s_cbranch_execz .LBB2_411
; %bb.410:                              ;   in Loop: Header=BB2_278 Depth=3
	ds_write_b32 v0, v101
	s_trap 2
.LBB2_411:                              ;   in Loop: Header=BB2_278 Depth=3
	s_or_b32 exec_lo, exec_lo, s27
	;;#ASMSTART
	s_wakeup
	;;#ASMEND
.LBB2_412:                              ;   in Loop: Header=BB2_278 Depth=3
	s_or_b32 exec_lo, exec_lo, s26
.LBB2_413:                              ;   in Loop: Header=BB2_278 Depth=3
	s_andn2_saveexec_b32 s17, s17
	s_cbranch_execz .LBB2_415
; %bb.414:                              ;   in Loop: Header=BB2_278 Depth=3
	;;#ASMSTART
	s_waitcnt lgkmcnt(0) vmcnt(0)
	;;#ASMEND
	s_barrier
.LBB2_415:                              ;   in Loop: Header=BB2_278 Depth=3
	s_or_b32 exec_lo, exec_lo, s17
	v_and_b32_e32 v2, 16, v87
.LBB2_416:                              ;   in Loop: Header=BB2_278 Depth=3
	s_or_b32 exec_lo, exec_lo, s16
	v_cmp_ne_u32_e32 vcc_lo, 0, v2
	s_xor_b32 s16, s7, -1
	s_and_b32 s17, vcc_lo, s16
	s_and_saveexec_b32 s16, s17
	s_cbranch_execz .LBB2_418
; %bb.417:                              ;   in Loop: Header=BB2_278 Depth=3
	s_waitcnt vmcnt(0) lgkmcnt(0)
	s_waitcnt_vscnt null, 0x0
	flat_store_dword v[24:25], v101
.LBB2_418:                              ;   in Loop: Header=BB2_278 Depth=3
	s_or_b32 exec_lo, exec_lo, s16
	v_and_b32_e32 v2, 48, v87
	s_mov_b32 s16, exec_lo
	v_cmpx_ne_u32_e32 0, v2
	s_cbranch_execz .LBB2_277
; %bb.419:                              ;   in Loop: Header=BB2_278 Depth=3
	v_add_co_u32 v38, vcc_lo, v38, 2
	v_add_co_ci_u32_e64 v39, null, 0, v39, vcc_lo
	s_waitcnt vmcnt(0) lgkmcnt(0)
	s_waitcnt_vscnt null, 0x0
	flat_store_dwordx2 v[20:21], v[38:39]
	s_branch .LBB2_277
.LBB2_420:                              ;   in Loop: Header=BB2_275 Depth=2
	s_or_b32 exec_lo, exec_lo, s20
.LBB2_421:                              ;   in Loop: Header=BB2_275 Depth=2
	s_or_b32 exec_lo, exec_lo, s19
	s_mov_b32 s17, exec_lo
	v_cmpx_gt_i32_e32 2, v2
	s_cbranch_execz .LBB2_274
; %bb.422:                              ;   in Loop: Header=BB2_275 Depth=2
	v_cmp_eq_u32_e64 s20, 0, v2
	s_mov_b32 s19, 0
	s_branch .LBB2_424
.LBB2_423:                              ;   in Loop: Header=BB2_424 Depth=3
	s_or_b32 exec_lo, exec_lo, s16
	v_add_nc_u32_e32 v10, v8, v10
	s_mov_b32 s20, 0
	s_andn2_b32 exec_lo, exec_lo, s19
	s_cbranch_execz .LBB2_273
.LBB2_424:                              ;   Parent Loop BB2_47 Depth=1
                                        ;     Parent Loop BB2_275 Depth=2
                                        ; =>    This Loop Header: Depth=3
                                        ;         Child Loop BB2_430 Depth 4
                                        ;         Child Loop BB2_458 Depth 4
	;; [unrolled: 1-line block ×3, first 2 shown]
	v_sub_nc_u32_e32 v2, v80, v10
	v_and_b32_e32 v9, 12, v87
	s_mov_b32 s22, exec_lo
	v_min_i32_e32 v8, v8, v2
	v_cmpx_ne_u32_e32 0, v9
	s_cbranch_execz .LBB2_450
; %bb.425:                              ;   in Loop: Header=BB2_424 Depth=3
	v_and_b32_e32 v2, 8, v87
	s_mov_b32 s25, exec_lo
	s_waitcnt vmcnt(0) lgkmcnt(1)
	v_add_co_u32 v54, vcc_lo, v26, v2
	v_add_co_ci_u32_e64 v55, null, 0, v27, vcc_lo
	v_add_co_u32 v52, vcc_lo, v38, 2
	v_add_co_ci_u32_e64 v53, null, 0, v39, vcc_lo
	v_cmpx_lt_u64_e64 v[54:55], v[52:53]
	s_cbranch_execz .LBB2_437
; %bb.426:                              ;   in Loop: Header=BB2_424 Depth=3
	v_and_b32_e32 v9, 64, v87
	s_mov_b32 s26, 0
	s_mov_b32 s75, 0
                                        ; implicit-def: $sgpr27
                                        ; implicit-def: $sgpr28
                                        ; implicit-def: $sgpr29
	v_cmp_eq_u32_e32 vcc_lo, 0, v9
	s_branch .LBB2_430
.LBB2_427:                              ;   in Loop: Header=BB2_430 Depth=4
	s_waitcnt vmcnt(0) lgkmcnt(0)
	v_add_co_u32 v54, s16, v26, v2
	v_add_co_ci_u32_e64 v55, null, 0, v27, s16
	s_or_b32 s78, s78, exec_lo
	v_cmp_ge_u64_e64 s16, v[54:55], v[52:53]
	s_orn2_b32 s77, s16, exec_lo
.LBB2_428:                              ;   in Loop: Header=BB2_430 Depth=4
	s_or_b32 exec_lo, exec_lo, s88
	s_andn2_b32 s16, s29, exec_lo
	s_and_b32 s29, s78, exec_lo
	s_andn2_b32 s28, s28, exec_lo
	s_and_b32 s77, s77, exec_lo
	s_or_b32 s29, s16, s29
	s_or_b32 s28, s28, s77
.LBB2_429:                              ;   in Loop: Header=BB2_430 Depth=4
	s_or_b32 exec_lo, exec_lo, s76
	s_and_b32 s16, exec_lo, s28
	s_or_b32 s26, s16, s26
	s_andn2_b32 s16, s27, exec_lo
	s_and_b32 s27, s29, exec_lo
	s_or_b32 s27, s16, s27
	s_andn2_b32 exec_lo, exec_lo, s26
	s_cbranch_execz .LBB2_434
.LBB2_430:                              ;   Parent Loop BB2_47 Depth=1
                                        ;     Parent Loop BB2_275 Depth=2
                                        ;       Parent Loop BB2_424 Depth=3
                                        ; =>      This Inner Loop Header: Depth=4
	s_sleep 1
	s_waitcnt vmcnt(0) lgkmcnt(0)
	flat_load_dwordx2 v[26:27], v[20:21] glc dlc
	s_or_b32 s29, s29, exec_lo
	s_or_b32 s28, s28, exec_lo
                                        ; implicit-def: $vgpr9
	s_and_saveexec_b32 s76, vcc_lo
	s_cbranch_execz .LBB2_429
; %bb.431:                              ;   in Loop: Header=BB2_430 Depth=4
	s_cmpk_lt_i32 s75, 0x270f
	s_mov_b32 s77, -1
	s_cselect_b32 s79, -1, 0
	s_cmpk_gt_i32 s75, 0x270e
	s_cbranch_scc0 .LBB2_433
; %bb.432:                              ;   in Loop: Header=BB2_430 Depth=4
	s_trap 2
	ds_read_b64 v[54:55], v0
	s_andn2_b32 s75, s79, exec_lo
	s_mov_b32 s78, 0
	s_waitcnt vmcnt(0) lgkmcnt(0)
	s_waitcnt_vscnt null, 0x0
	flat_load_dword v9, v[54:55] glc dlc
	s_waitcnt vmcnt(0) lgkmcnt(0)
	buffer_gl1_inv
	buffer_gl0_inv
	v_cmp_eq_u32_e64 s16, 0, v9
	s_and_b32 s16, s16, exec_lo
	s_or_b32 s79, s75, s16
	s_mov_b32 s75, 0
	s_and_saveexec_b32 s88, s79
	s_cbranch_execz .LBB2_428
	s_branch .LBB2_427
.LBB2_433:                              ;   in Loop: Header=BB2_430 Depth=4
	s_add_i32 s75, s75, 1
	s_mov_b32 s78, -1
                                        ; implicit-def: $vgpr9
	s_and_saveexec_b32 s88, s79
	s_cbranch_execz .LBB2_428
	s_branch .LBB2_427
.LBB2_434:                              ;   in Loop: Header=BB2_424 Depth=3
	s_or_b32 exec_lo, exec_lo, s26
	s_xor_b32 s16, s27, -1
	s_and_saveexec_b32 s26, s16
	s_xor_b32 s16, exec_lo, s26
	s_cbranch_execz .LBB2_436
; %bb.435:                              ;   in Loop: Header=BB2_424 Depth=3
	v_or_b32_e32 v87, 64, v87
	s_waitcnt vmcnt(0) lgkmcnt(0)
	s_waitcnt_vscnt null, 0x0
	ds_write_b32 v0, v9
	s_trap 2
.LBB2_436:                              ;   in Loop: Header=BB2_424 Depth=3
	s_or_b32 exec_lo, exec_lo, s16
.LBB2_437:                              ;   in Loop: Header=BB2_424 Depth=3
	s_or_b32 exec_lo, exec_lo, s25
	v_and_b32_e32 v9, 0x108, v87
	s_mov_b32 s16, exec_lo
	;;#ASMSTART
	s_wakeup
	;;#ASMEND
	v_cmpx_ne_u32_e32 0x108, v9
	s_xor_b32 s16, exec_lo, s16
                                        ; implicit-def: $vgpr11
; %bb.438:                              ;   in Loop: Header=BB2_424 Depth=3
	v_and_b32_e32 v11, 7, v38
                                        ; implicit-def: $vgpr38_vgpr39
; %bb.439:                              ;   in Loop: Header=BB2_424 Depth=3
	s_andn2_saveexec_b32 s16, s16
	s_cbranch_execz .LBB2_441
; %bb.440:                              ;   in Loop: Header=BB2_424 Depth=3
	v_and_b32_e32 v11, 7, v38
	v_ashrrev_i32_e32 v9, 31, v8
	v_mad_u64_u32 v[38:39], null, v11, 24, v[6:7]
	v_lshlrev_b64 v[54:55], 3, v[8:9]
	flat_store_dwordx2 v[38:39], v[54:55] offset:8
.LBB2_441:                              ;   in Loop: Header=BB2_424 Depth=3
	s_or_b32 exec_lo, exec_lo, s16
	v_and_b32_e32 v9, 0x100, v87
	s_mov_b32 s16, -1
	s_mov_b32 s25, exec_lo
                                        ; implicit-def: $vgpr38_vgpr39
	v_cmpx_ne_u32_e32 0, v9
	s_cbranch_execz .LBB2_445
; %bb.442:                              ;   in Loop: Header=BB2_424 Depth=3
	v_mad_u64_u32 v[54:55], null, v11, 24, v[6:7]
	s_mov_b32 s26, exec_lo
	v_mov_b32_e32 v9, v55
	v_mad_u64_u32 v[38:39], null, v3, 24, v[9:10]
	v_mov_b32_e32 v55, v38
                                        ; implicit-def: $vgpr38_vgpr39
	flat_load_dword v9, v[54:55]
	s_waitcnt vmcnt(0) lgkmcnt(0)
	v_cmp_ne_u32_e32 vcc_lo, 1, v9
	v_cmpx_eq_u32_e32 1, v9
	s_cbranch_execz .LBB2_444
; %bb.443:                              ;   in Loop: Header=BB2_424 Depth=3
	flat_load_dword v38, v[54:55] offset:4 glc dlc
	s_waitcnt vmcnt(0) lgkmcnt(0)
	v_ashrrev_i32_e32 v39, 31, v38
	v_lshrrev_b64 v[38:39], 3, v[38:39]
.LBB2_444:                              ;   in Loop: Header=BB2_424 Depth=3
	s_or_b32 exec_lo, exec_lo, s26
	s_orn2_b32 s16, vcc_lo, exec_lo
.LBB2_445:                              ;   in Loop: Header=BB2_424 Depth=3
	s_or_b32 exec_lo, exec_lo, s25
	s_and_saveexec_b32 s25, s16
; %bb.446:                              ;   in Loop: Header=BB2_424 Depth=3
	v_mul_lo_u32 v9, v3, v96
	v_mul_lo_u32 v54, v11, v30
	v_mad_u64_u32 v[38:39], null, v11, v96, 0
	v_add3_u32 v39, v39, v54, v9
; %bb.447:                              ;   in Loop: Header=BB2_424 Depth=3
	s_or_b32 exec_lo, exec_lo, s25
	v_cmp_eq_u32_e32 vcc_lo, 0, v2
	v_lshlrev_b64 v[38:39], 3, v[38:39]
	v_and_b32_e32 v9, 0x2000, v87
	s_mov_b32 s16, exec_lo
	v_cndmask_b32_e32 v2, 0xc8, v102, vcc_lo
	v_add_co_u32 v38, vcc_lo, v22, v38
	v_add_co_ci_u32_e64 v39, null, v23, v39, vcc_lo
	v_add_nc_u32_e32 v2, v0, v2
	ds_write_b64 v2, v[38:39] offset:584
	v_cmpx_ne_u32_e32 0, v9
	s_cbranch_execz .LBB2_449
; %bb.448:                              ;   in Loop: Header=BB2_424 Depth=3
	ds_read_b64 v[38:39], v0 offset:872
	s_waitcnt lgkmcnt(0)
	v_add_co_u32 v38, vcc_lo, v38, 1
	v_add_co_ci_u32_e64 v39, null, 0, v39, vcc_lo
	ds_write_b64 v0, v[38:39] offset:872
.LBB2_449:                              ;   in Loop: Header=BB2_424 Depth=3
	s_or_b32 exec_lo, exec_lo, s16
	v_mov_b32_e32 v38, v52
	v_mov_b32_e32 v39, v53
.LBB2_450:                              ;   in Loop: Header=BB2_424 Depth=3
	s_or_b32 exec_lo, exec_lo, s22
	s_xor_b32 s16, s20, -1
	s_and_b32 s16, exec_lo, s16
	s_or_b32 s19, s16, s19
	s_and_saveexec_b32 s16, s6
	s_cbranch_execz .LBB2_469
; %bb.451:                              ;   in Loop: Header=BB2_424 Depth=3
	s_and_saveexec_b32 s20, s44
	s_xor_b32 s20, exec_lo, s20
	s_cbranch_execz .LBB2_466
; %bb.452:                              ;   in Loop: Header=BB2_424 Depth=3
	s_and_saveexec_b32 s22, s11
	s_cbranch_execz .LBB2_465
; %bb.453:                              ;   in Loop: Header=BB2_424 Depth=3
	s_mov_b32 s26, exec_lo
	s_mov_b32 s25, exec_lo
	v_mbcnt_lo_u32_b32 v2, s26, 0
	s_waitcnt vmcnt(0) lgkmcnt(0)
	s_waitcnt_vscnt null, 0x0
	buffer_gl1_inv
	buffer_gl0_inv
	v_cmpx_eq_u32_e32 0, v2
	s_cbranch_execz .LBB2_455
; %bb.454:                              ;   in Loop: Header=BB2_424 Depth=3
	s_bcnt1_i32_b32 s26, s26
	v_mov_b32_e32 v2, s26
	ds_add_u64 v0, v[2:3]
	s_trap 2
.LBB2_455:                              ;   in Loop: Header=BB2_424 Depth=3
	s_or_b32 exec_lo, exec_lo, s25
	s_trap 2
	ds_read_b64 v[52:53], v0
	s_waitcnt lgkmcnt(0)
	buffer_gl0_inv
	v_add_co_u32 v12, vcc_lo, v12, v97
	v_add_co_ci_u32_e64 v13, null, 0, v13, vcc_lo
	s_mov_b32 s25, exec_lo
	v_cmpx_lt_u64_e64 v[52:53], v[12:13]
	s_cbranch_execz .LBB2_464
; %bb.456:                              ;   in Loop: Header=BB2_424 Depth=3
	s_mov_b32 s26, 0
	s_mov_b32 s29, 0
                                        ; implicit-def: $sgpr27
                                        ; implicit-def: $sgpr28
	s_inst_prefetch 0x1
	s_branch .LBB2_458
	.p2align	6
.LBB2_457:                              ;   in Loop: Header=BB2_458 Depth=4
	s_or_b32 exec_lo, exec_lo, s76
	s_and_b32 s75, exec_lo, s77
	s_or_b32 s26, s75, s26
	s_andn2_b32 s27, s27, exec_lo
	s_and_b32 s75, s28, exec_lo
	s_or_b32 s27, s27, s75
	s_andn2_b32 exec_lo, exec_lo, s26
	s_cbranch_execz .LBB2_462
.LBB2_458:                              ;   Parent Loop BB2_47 Depth=1
                                        ;     Parent Loop BB2_275 Depth=2
                                        ;       Parent Loop BB2_424 Depth=3
                                        ; =>      This Inner Loop Header: Depth=4
	s_add_i32 s29, s29, 1
	s_cmpk_lg_i32 s29, 0x2710
	s_cselect_b32 s75, -1, 0
	s_and_b32 vcc_lo, exec_lo, s75
	s_cbranch_vccz .LBB2_460
; %bb.459:                              ;   in Loop: Header=BB2_458 Depth=4
	s_mov_b32 s77, -1
	s_or_b32 s28, s28, exec_lo
	s_and_saveexec_b32 s76, s75
	s_cbranch_execz .LBB2_457
	s_branch .LBB2_461
	.p2align	6
.LBB2_460:                              ;   in Loop: Header=BB2_458 Depth=4
	s_trap 2
	ds_read_b64 v[52:53], v0
	s_andn2_b32 s75, s75, exec_lo
	s_mov_b32 s29, 0
	s_waitcnt lgkmcnt(0)
	flat_load_dword v2, v[52:53] glc dlc
	s_waitcnt vmcnt(0) lgkmcnt(0)
	buffer_gl1_inv
	buffer_gl0_inv
	v_cmp_eq_u32_e32 vcc_lo, 0, v2
	s_and_b32 s76, vcc_lo, exec_lo
	s_or_b32 s75, s75, s76
	s_mov_b32 s77, -1
	s_or_b32 s28, s28, exec_lo
	s_and_saveexec_b32 s76, s75
	s_cbranch_execz .LBB2_457
.LBB2_461:                              ;   in Loop: Header=BB2_458 Depth=4
	s_sleep 1
	s_trap 2
	ds_read_b64 v[52:53], v0
	s_waitcnt lgkmcnt(0)
	buffer_gl0_inv
	s_andn2_b32 s28, s28, exec_lo
	v_cmp_ge_u64_e32 vcc_lo, v[52:53], v[12:13]
	s_orn2_b32 s77, vcc_lo, exec_lo
	s_branch .LBB2_457
.LBB2_462:                              ;   in Loop: Header=BB2_424 Depth=3
	s_inst_prefetch 0x2
	s_or_b32 exec_lo, exec_lo, s26
	s_and_saveexec_b32 s26, s27
	s_xor_b32 s26, exec_lo, s26
	s_cbranch_execz .LBB2_464
; %bb.463:                              ;   in Loop: Header=BB2_424 Depth=3
	ds_write_b32 v0, v101
	s_trap 2
.LBB2_464:                              ;   in Loop: Header=BB2_424 Depth=3
	s_or_b32 exec_lo, exec_lo, s25
	;;#ASMSTART
	s_wakeup
	;;#ASMEND
.LBB2_465:                              ;   in Loop: Header=BB2_424 Depth=3
	s_or_b32 exec_lo, exec_lo, s22
.LBB2_466:                              ;   in Loop: Header=BB2_424 Depth=3
	s_andn2_saveexec_b32 s20, s20
	s_cbranch_execz .LBB2_468
; %bb.467:                              ;   in Loop: Header=BB2_424 Depth=3
	s_waitcnt vmcnt(0) lgkmcnt(0)
	s_waitcnt_vscnt null, 0x0
	buffer_gl1_inv
	buffer_gl0_inv
	s_barrier
.LBB2_468:                              ;   in Loop: Header=BB2_424 Depth=3
	s_or_b32 exec_lo, exec_lo, s20
.LBB2_469:                              ;   in Loop: Header=BB2_424 Depth=3
	s_or_b32 exec_lo, exec_lo, s16
                                        ; implicit-def: $vgpr2
	s_and_saveexec_b32 s16, s60
	s_xor_b32 s16, exec_lo, s16
	s_cbranch_execz .LBB2_481
; %bb.470:                              ;   in Loop: Header=BB2_424 Depth=3
	s_and_saveexec_b32 s20, s44
	s_xor_b32 s20, exec_lo, s20
	s_cbranch_execz .LBB2_486
; %bb.471:                              ;   in Loop: Header=BB2_424 Depth=3
	s_and_saveexec_b32 s22, s11
	s_cbranch_execz .LBB2_485
; %bb.472:                              ;   in Loop: Header=BB2_424 Depth=3
	s_mov_b32 s26, exec_lo
	s_mov_b32 s25, exec_lo
	v_mbcnt_lo_u32_b32 v2, s26, 0
	;;#ASMSTART
	s_waitcnt lgkmcnt(0) vmcnt(0)
	;;#ASMEND
	v_cmpx_eq_u32_e32 0, v2
	s_cbranch_execz .LBB2_474
; %bb.473:                              ;   in Loop: Header=BB2_424 Depth=3
	s_bcnt1_i32_b32 s26, s26
	v_mov_b32_e32 v2, s26
	s_waitcnt vmcnt(0) lgkmcnt(0)
	s_waitcnt_vscnt null, 0x0
	ds_add_u64 v0, v[2:3]
	s_trap 2
.LBB2_474:                              ;   in Loop: Header=BB2_424 Depth=3
	s_or_b32 exec_lo, exec_lo, s25
	s_trap 2
	ds_read_b64 v[52:53], v0
	s_waitcnt vmcnt(0) lgkmcnt(0)
	buffer_gl0_inv
	v_add_co_u32 v12, vcc_lo, v12, v97
	v_add_co_ci_u32_e64 v13, null, 0, v13, vcc_lo
	s_mov_b32 s25, exec_lo
	v_cmpx_lt_u64_e64 v[52:53], v[12:13]
	s_cbranch_execz .LBB2_484
; %bb.475:                              ;   in Loop: Header=BB2_424 Depth=3
	s_mov_b32 s26, 0
	s_mov_b32 s29, 0
                                        ; implicit-def: $sgpr27
                                        ; implicit-def: $sgpr28
	s_inst_prefetch 0x1
	s_branch .LBB2_477
	.p2align	6
.LBB2_476:                              ;   in Loop: Header=BB2_477 Depth=4
	s_or_b32 exec_lo, exec_lo, s76
	s_and_b32 s75, exec_lo, s77
	s_or_b32 s26, s75, s26
	s_andn2_b32 s27, s27, exec_lo
	s_and_b32 s75, s28, exec_lo
	s_or_b32 s27, s27, s75
	s_andn2_b32 exec_lo, exec_lo, s26
	s_cbranch_execz .LBB2_482
.LBB2_477:                              ;   Parent Loop BB2_47 Depth=1
                                        ;     Parent Loop BB2_275 Depth=2
                                        ;       Parent Loop BB2_424 Depth=3
                                        ; =>      This Inner Loop Header: Depth=4
	s_add_i32 s29, s29, 1
	s_cmpk_lg_i32 s29, 0x2710
	s_cselect_b32 s75, -1, 0
	s_and_b32 vcc_lo, exec_lo, s75
	s_cbranch_vccz .LBB2_479
; %bb.478:                              ;   in Loop: Header=BB2_477 Depth=4
	s_mov_b32 s77, -1
	s_or_b32 s28, s28, exec_lo
	s_and_saveexec_b32 s76, s75
	s_cbranch_execz .LBB2_476
	s_branch .LBB2_480
	.p2align	6
.LBB2_479:                              ;   in Loop: Header=BB2_477 Depth=4
	s_trap 2
	ds_read_b64 v[52:53], v0
	s_andn2_b32 s75, s75, exec_lo
	s_mov_b32 s29, 0
	s_waitcnt lgkmcnt(0)
	s_waitcnt_vscnt null, 0x0
	flat_load_dword v2, v[52:53] glc dlc
	s_waitcnt vmcnt(0) lgkmcnt(0)
	buffer_gl1_inv
	buffer_gl0_inv
	v_cmp_eq_u32_e32 vcc_lo, 0, v2
	s_and_b32 s76, vcc_lo, exec_lo
	s_or_b32 s75, s75, s76
	s_mov_b32 s77, -1
	s_or_b32 s28, s28, exec_lo
	s_and_saveexec_b32 s76, s75
	s_cbranch_execz .LBB2_476
.LBB2_480:                              ;   in Loop: Header=BB2_477 Depth=4
	s_sleep 1
	s_trap 2
	ds_read_b64 v[52:53], v0
	s_waitcnt lgkmcnt(0)
	buffer_gl0_inv
	s_andn2_b32 s28, s28, exec_lo
	v_cmp_ge_u64_e32 vcc_lo, v[52:53], v[12:13]
	s_orn2_b32 s77, vcc_lo, exec_lo
	s_branch .LBB2_476
.LBB2_481:                              ;   in Loop: Header=BB2_424 Depth=3
	s_andn2_saveexec_b32 s20, s16
	s_cbranch_execnz .LBB2_489
	s_branch .LBB2_492
.LBB2_482:                              ;   in Loop: Header=BB2_424 Depth=3
	s_inst_prefetch 0x2
	s_or_b32 exec_lo, exec_lo, s26
	s_and_saveexec_b32 s26, s27
	s_xor_b32 s26, exec_lo, s26
	s_cbranch_execz .LBB2_484
; %bb.483:                              ;   in Loop: Header=BB2_424 Depth=3
	ds_write_b32 v0, v101
	s_trap 2
.LBB2_484:                              ;   in Loop: Header=BB2_424 Depth=3
	s_or_b32 exec_lo, exec_lo, s25
	;;#ASMSTART
	s_wakeup
	;;#ASMEND
.LBB2_485:                              ;   in Loop: Header=BB2_424 Depth=3
	s_or_b32 exec_lo, exec_lo, s22
.LBB2_486:                              ;   in Loop: Header=BB2_424 Depth=3
	s_andn2_saveexec_b32 s20, s20
	s_cbranch_execz .LBB2_488
; %bb.487:                              ;   in Loop: Header=BB2_424 Depth=3
	;;#ASMSTART
	s_waitcnt lgkmcnt(0) vmcnt(0)
	;;#ASMEND
	s_barrier
.LBB2_488:                              ;   in Loop: Header=BB2_424 Depth=3
	s_or_b32 exec_lo, exec_lo, s20
	v_and_b32_e32 v2, 16, v87
	s_andn2_saveexec_b32 s20, s16
	s_cbranch_execz .LBB2_492
.LBB2_489:                              ;   in Loop: Header=BB2_424 Depth=3
	s_trap 2
	ds_read_b32 v2, v0
	v_cmp_lt_i32_e32 vcc_lo, 0, v8
	s_waitcnt lgkmcnt(0)
	v_readfirstlane_b32 s16, v2
	v_and_b32_e32 v2, 16, v87
	s_cmp_eq_u32 s16, 0
	v_cmp_ne_u32_e64 s16, 0, v2
	s_cselect_b32 s22, -1, 0
	v_and_b32_e32 v2, 16, v87
	s_and_b32 s22, vcc_lo, s22
	s_and_b32 s22, s16, s22
	s_and_saveexec_b32 s16, s22
	s_cbranch_execz .LBB2_491
; %bb.490:                              ;   in Loop: Header=BB2_424 Depth=3
	v_mov_b32_e32 v2, 1
	s_waitcnt vmcnt(0)
	s_waitcnt_vscnt null, 0x0
	buffer_gl1_inv
	buffer_gl0_inv
.LBB2_491:                              ;   in Loop: Header=BB2_424 Depth=3
	s_or_b32 exec_lo, exec_lo, s16
.LBB2_492:                              ;   in Loop: Header=BB2_424 Depth=3
	s_or_b32 exec_lo, exec_lo, s20
	v_cmp_ne_u32_e32 vcc_lo, 0, v2
	s_xor_b32 s16, s7, -1
	s_and_b32 s20, vcc_lo, s16
	s_and_saveexec_b32 s16, s20
	s_cbranch_execz .LBB2_494
; %bb.493:                              ;   in Loop: Header=BB2_424 Depth=3
	s_waitcnt vmcnt(0) lgkmcnt(0)
	s_waitcnt_vscnt null, 0x0
	flat_store_dword v[24:25], v101
.LBB2_494:                              ;   in Loop: Header=BB2_424 Depth=3
	s_or_b32 exec_lo, exec_lo, s16
	v_and_b32_e32 v2, 48, v87
	s_mov_b32 s16, exec_lo
	v_cmpx_ne_u32_e32 0, v2
	s_cbranch_execz .LBB2_423
; %bb.495:                              ;   in Loop: Header=BB2_424 Depth=3
	v_add_co_u32 v38, vcc_lo, v38, 2
	v_add_co_ci_u32_e64 v39, null, 0, v39, vcc_lo
	s_waitcnt vmcnt(0) lgkmcnt(0)
	s_waitcnt_vscnt null, 0x0
	flat_store_dwordx2 v[20:21], v[38:39]
	s_branch .LBB2_423
.LBB2_496:                              ;   in Loop: Header=BB2_47 Depth=1
	v_mul_lo_u32 v2, v37, s41
	v_mul_lo_u32 v10, v36, s43
	v_mad_u64_u32 v[8:9], null, v36, s41, 0
	v_mov_b32_e32 v54, 0
	v_add3_u32 v9, v9, v10, v2
	v_sub_co_u32 v10, vcc_lo, v48, v8
	v_sub_co_ci_u32_e64 v11, null, v49, v9, vcc_lo
	v_cmp_lt_i64_e32 vcc_lo, v[36:37], v[10:11]
	v_cndmask_b32_e32 v10, v10, v36, vcc_lo
	v_max_i32_e32 v56, 0, v10
	v_cmp_lt_i32_e32 vcc_lo, 0, v10
	v_add_nc_u32_e32 v2, 31, v56
	s_and_b32 s16, s62, vcc_lo
	v_lshrrev_b32_e32 v2, 1, v2
	v_and_b32_e32 v11, 0x3ffffff0, v2
	v_mov_b32_e32 v2, 0
	v_max_i32_e32 v52, s58, v11
	s_and_saveexec_b32 s25, s16
	s_cbranch_execz .LBB2_723
; %bb.497:                              ;   in Loop: Header=BB2_47 Depth=1
	v_add_co_u32 v8, vcc_lo, v8, v50
	v_add_co_ci_u32_e64 v9, null, v9, v51, vcc_lo
	v_mov_b32_e32 v54, 0
	s_mov_b32 s77, 1
	s_mov_b32 s76, -1
	v_lshlrev_b64 v[64:65], 3, v[8:9]
	s_mov_b32 s75, 0
	s_branch .LBB2_499
.LBB2_498:                              ;   in Loop: Header=BB2_499 Depth=2
	s_or_b32 exec_lo, exec_lo, s16
	v_add_nc_u32_e32 v54, v52, v54
	s_xor_b32 s16, s76, -1
	v_mov_b32_e32 v2, s77
	s_mov_b32 s76, 0
	s_mov_b32 s77, 2
	v_cmp_ge_i32_e32 vcc_lo, v54, v56
	s_or_b32 s16, s16, vcc_lo
	s_and_b32 s16, exec_lo, s16
	s_or_b32 s75, s16, s75
	s_andn2_b32 exec_lo, exec_lo, s75
	s_cbranch_execz .LBB2_722
.LBB2_499:                              ;   Parent Loop BB2_47 Depth=1
                                        ; =>  This Loop Header: Depth=2
                                        ;       Child Loop BB2_507 Depth 3
                                        ;       Child Loop BB2_533 Depth 3
	;; [unrolled: 1-line block ×4, first 2 shown]
                                        ;         Child Loop BB2_587 Depth 4
                                        ;       Child Loop BB2_598 Depth 3
                                        ;         Child Loop BB2_599 Depth 4
                                        ;       Child Loop BB2_613 Depth 3
	;; [unrolled: 2-line block ×4, first 2 shown]
                                        ;       Child Loop BB2_656 Depth 3
                                        ;       Child Loop BB2_669 Depth 3
	;; [unrolled: 1-line block ×5, first 2 shown]
	s_and_saveexec_b32 s17, s4
	s_cbranch_execz .LBB2_501
; %bb.500:                              ;   in Loop: Header=BB2_499 Depth=2
	s_trap 2
	ds_read2_b64 v[8:11], v0 offset1:1
	ds_read_b64 v[66:67], v0
	v_ashrrev_i32_e32 v55, 31, v54
	v_lshlrev_b64 v[68:69], 3, v[54:55]
	s_waitcnt lgkmcnt(1)
	v_add_co_u32 v2, vcc_lo, v8, v64
	v_add_co_ci_u32_e64 v9, null, v9, v65, vcc_lo
	v_add_co_u32 v10, vcc_lo, v10, v64
	v_add_co_ci_u32_e64 v11, null, v11, v65, vcc_lo
	s_waitcnt lgkmcnt(0)
	v_add_co_u32 v53, vcc_lo, v66, v64
	v_add_co_ci_u32_e64 v55, null, v67, v65, vcc_lo
	v_add_co_u32 v8, vcc_lo, v2, v68
	v_add_co_ci_u32_e64 v9, null, v9, v69, vcc_lo
	;; [unrolled: 2-line block ×3, first 2 shown]
	v_cmp_ne_u64_e32 vcc_lo, 0, v[66:67]
	v_add_co_u32 v10, s16, v10, v68
	v_add_co_ci_u32_e64 v11, null, v11, v69, s16
	v_cndmask_b32_e32 v67, 0, v53, vcc_lo
	v_cndmask_b32_e32 v66, 0, v2, vcc_lo
	ds_write_b64 v0, v[8:9]
	ds_write_b64 v0, v[10:11]
	;; [unrolled: 1-line block ×3, first 2 shown]
.LBB2_501:                              ;   in Loop: Header=BB2_499 Depth=2
	s_or_b32 exec_lo, exec_lo, s17
	v_sub_nc_u32_e32 v2, v56, v54
	v_and_b32_e32 v8, 12, v87
	s_mov_b32 s17, exec_lo
	v_min_i32_e32 v52, v52, v2
	v_cmpx_ne_u32_e32 0, v8
	s_cbranch_execz .LBB2_525
; %bb.502:                              ;   in Loop: Header=BB2_499 Depth=2
	v_and_b32_e32 v2, 8, v87
	s_mov_b32 s18, exec_lo
	s_waitcnt vmcnt(0) lgkmcnt(1)
	v_add_co_u32 v10, vcc_lo, v26, v2
	v_add_co_ci_u32_e64 v11, null, 0, v27, vcc_lo
	v_add_co_u32 v8, vcc_lo, v38, 2
	v_add_co_ci_u32_e64 v9, null, 0, v39, vcc_lo
	v_cmpx_lt_u64_e64 v[10:11], v[8:9]
	s_cbranch_execz .LBB2_514
; %bb.503:                              ;   in Loop: Header=BB2_499 Depth=2
	v_and_b32_e32 v10, 64, v87
	s_mov_b32 s19, 0
	s_mov_b32 s27, 0
                                        ; implicit-def: $sgpr20
                                        ; implicit-def: $sgpr22
                                        ; implicit-def: $sgpr26
	v_cmp_eq_u32_e32 vcc_lo, 0, v10
	s_branch .LBB2_507
.LBB2_504:                              ;   in Loop: Header=BB2_507 Depth=3
	s_waitcnt vmcnt(0) lgkmcnt(0)
	v_add_co_u32 v66, s16, v26, v2
	v_add_co_ci_u32_e64 v67, null, 0, v27, s16
	s_or_b32 s78, s78, exec_lo
	v_cmp_ge_u64_e64 s16, v[66:67], v[8:9]
	s_orn2_b32 s29, s16, exec_lo
.LBB2_505:                              ;   in Loop: Header=BB2_507 Depth=3
	s_or_b32 exec_lo, exec_lo, s88
	s_andn2_b32 s16, s26, exec_lo
	s_and_b32 s26, s78, exec_lo
	s_andn2_b32 s22, s22, exec_lo
	s_and_b32 s29, s29, exec_lo
	s_or_b32 s26, s16, s26
	s_or_b32 s22, s22, s29
.LBB2_506:                              ;   in Loop: Header=BB2_507 Depth=3
	s_or_b32 exec_lo, exec_lo, s28
	s_and_b32 s16, exec_lo, s22
	s_or_b32 s19, s16, s19
	s_andn2_b32 s16, s20, exec_lo
	s_and_b32 s20, s26, exec_lo
	s_or_b32 s20, s16, s20
	s_andn2_b32 exec_lo, exec_lo, s19
	s_cbranch_execz .LBB2_511
.LBB2_507:                              ;   Parent Loop BB2_47 Depth=1
                                        ;     Parent Loop BB2_499 Depth=2
                                        ; =>    This Inner Loop Header: Depth=3
	s_sleep 1
	s_waitcnt vmcnt(0) lgkmcnt(0)
	flat_load_dwordx2 v[26:27], v[20:21] glc dlc
	s_or_b32 s26, s26, exec_lo
	s_or_b32 s22, s22, exec_lo
                                        ; implicit-def: $vgpr10
	s_and_saveexec_b32 s28, vcc_lo
	s_cbranch_execz .LBB2_506
; %bb.508:                              ;   in Loop: Header=BB2_507 Depth=3
	s_cmpk_lt_i32 s27, 0x270f
	s_mov_b32 s29, -1
	s_cselect_b32 s79, -1, 0
	s_cmpk_gt_i32 s27, 0x270e
	s_cbranch_scc0 .LBB2_510
; %bb.509:                              ;   in Loop: Header=BB2_507 Depth=3
	s_trap 2
	ds_read_b64 v[10:11], v0
	s_andn2_b32 s27, s79, exec_lo
	s_mov_b32 s78, 0
	s_waitcnt vmcnt(0) lgkmcnt(0)
	s_waitcnt_vscnt null, 0x0
	flat_load_dword v10, v[10:11] glc dlc
	s_waitcnt vmcnt(0) lgkmcnt(0)
	buffer_gl1_inv
	buffer_gl0_inv
	v_cmp_eq_u32_e64 s16, 0, v10
	s_and_b32 s16, s16, exec_lo
	s_or_b32 s79, s27, s16
	s_mov_b32 s27, 0
	s_and_saveexec_b32 s88, s79
	s_cbranch_execz .LBB2_505
	s_branch .LBB2_504
.LBB2_510:                              ;   in Loop: Header=BB2_507 Depth=3
	s_add_i32 s27, s27, 1
	s_mov_b32 s78, -1
                                        ; implicit-def: $vgpr10
	s_and_saveexec_b32 s88, s79
	s_cbranch_execz .LBB2_505
	s_branch .LBB2_504
.LBB2_511:                              ;   in Loop: Header=BB2_499 Depth=2
	s_or_b32 exec_lo, exec_lo, s19
	s_xor_b32 s16, s20, -1
	s_and_saveexec_b32 s19, s16
	s_xor_b32 s16, exec_lo, s19
	s_cbranch_execz .LBB2_513
; %bb.512:                              ;   in Loop: Header=BB2_499 Depth=2
	v_or_b32_e32 v87, 64, v87
	s_waitcnt vmcnt(0) lgkmcnt(0)
	s_waitcnt_vscnt null, 0x0
	ds_write_b32 v0, v10
	s_trap 2
.LBB2_513:                              ;   in Loop: Header=BB2_499 Depth=2
	s_or_b32 exec_lo, exec_lo, s16
.LBB2_514:                              ;   in Loop: Header=BB2_499 Depth=2
	s_or_b32 exec_lo, exec_lo, s18
	v_and_b32_e32 v10, 0x108, v87
	v_and_b32_e32 v55, 7, v38
	s_mov_b32 s16, exec_lo
	;;#ASMSTART
	s_wakeup
	;;#ASMEND
	v_cmpx_ne_u32_e32 0x108, v10
	s_xor_b32 s16, exec_lo, s16
	s_andn2_saveexec_b32 s16, s16
	s_cbranch_execz .LBB2_516
; %bb.515:                              ;   in Loop: Header=BB2_499 Depth=2
	v_ashrrev_i32_e32 v53, 31, v52
	v_mad_u64_u32 v[10:11], null, v55, 24, v[6:7]
	v_lshlrev_b64 v[38:39], 3, v[52:53]
	flat_store_dwordx2 v[10:11], v[38:39] offset:8
.LBB2_516:                              ;   in Loop: Header=BB2_499 Depth=2
	s_or_b32 exec_lo, exec_lo, s16
	v_and_b32_e32 v10, 0x100, v87
	s_mov_b32 s16, -1
	v_cmp_ne_u32_e32 vcc_lo, 0, v10
                                        ; implicit-def: $vgpr10_vgpr11
	s_and_saveexec_b32 s18, vcc_lo
	s_cbranch_execz .LBB2_520
; %bb.517:                              ;   in Loop: Header=BB2_499 Depth=2
	v_mad_u64_u32 v[38:39], null, v55, 24, v[6:7]
	v_mov_b32_e32 v10, v39
	v_mad_u64_u32 v[10:11], null, v3, 24, v[10:11]
	v_mov_b32_e32 v39, v10
	flat_load_dword v10, v[38:39]
	s_waitcnt vmcnt(0) lgkmcnt(0)
	v_cmp_eq_u32_e64 s16, 1, v10
	v_cmp_ne_u32_e32 vcc_lo, 1, v10
                                        ; implicit-def: $vgpr10_vgpr11
	s_and_saveexec_b32 s19, s16
	s_cbranch_execz .LBB2_519
; %bb.518:                              ;   in Loop: Header=BB2_499 Depth=2
	flat_load_dword v10, v[38:39] offset:4 glc dlc
	s_waitcnt vmcnt(0) lgkmcnt(0)
	v_ashrrev_i32_e32 v11, 31, v10
	v_lshrrev_b64 v[10:11], 3, v[10:11]
.LBB2_519:                              ;   in Loop: Header=BB2_499 Depth=2
	s_or_b32 exec_lo, exec_lo, s19
	s_orn2_b32 s16, vcc_lo, exec_lo
.LBB2_520:                              ;   in Loop: Header=BB2_499 Depth=2
	s_or_b32 exec_lo, exec_lo, s18
	s_and_saveexec_b32 s18, s16
; %bb.521:                              ;   in Loop: Header=BB2_499 Depth=2
	v_mul_lo_u32 v38, v3, v96
	v_mul_lo_u32 v39, v55, v30
	v_mad_u64_u32 v[10:11], null, v55, v96, 0
	v_add3_u32 v11, v11, v39, v38
; %bb.522:                              ;   in Loop: Header=BB2_499 Depth=2
	s_or_b32 exec_lo, exec_lo, s18
	v_cmp_eq_u32_e32 vcc_lo, 0, v2
	v_lshlrev_b64 v[10:11], 3, v[10:11]
	v_and_b32_e32 v38, 0x2000, v87
	s_mov_b32 s16, exec_lo
	v_cndmask_b32_e32 v2, 0xd0, v102, vcc_lo
	v_add_co_u32 v10, vcc_lo, v22, v10
	v_add_co_ci_u32_e64 v11, null, v23, v11, vcc_lo
	v_add_nc_u32_e32 v2, v0, v2
	ds_write_b64 v2, v[10:11] offset:584
	v_cmpx_ne_u32_e32 0, v38
	s_cbranch_execz .LBB2_524
; %bb.523:                              ;   in Loop: Header=BB2_499 Depth=2
	ds_read_b64 v[10:11], v0 offset:872
	s_waitcnt lgkmcnt(0)
	v_add_co_u32 v10, vcc_lo, v10, 1
	v_add_co_ci_u32_e64 v11, null, 0, v11, vcc_lo
	ds_write_b64 v0, v[10:11] offset:872
.LBB2_524:                              ;   in Loop: Header=BB2_499 Depth=2
	s_or_b32 exec_lo, exec_lo, s16
	v_mov_b32_e32 v39, v9
	v_mov_b32_e32 v38, v8
.LBB2_525:                              ;   in Loop: Header=BB2_499 Depth=2
	s_or_b32 exec_lo, exec_lo, s17
	s_and_saveexec_b32 s16, s6
	s_cbranch_execz .LBB2_544
; %bb.526:                              ;   in Loop: Header=BB2_499 Depth=2
	s_and_saveexec_b32 s17, s44
	s_xor_b32 s17, exec_lo, s17
	s_cbranch_execz .LBB2_541
; %bb.527:                              ;   in Loop: Header=BB2_499 Depth=2
	s_and_saveexec_b32 s18, s11
	s_cbranch_execz .LBB2_540
; %bb.528:                              ;   in Loop: Header=BB2_499 Depth=2
	s_mov_b32 s20, exec_lo
	s_mov_b32 s19, exec_lo
	v_mbcnt_lo_u32_b32 v2, s20, 0
	s_waitcnt vmcnt(0) lgkmcnt(0)
	s_waitcnt_vscnt null, 0x0
	buffer_gl1_inv
	buffer_gl0_inv
	v_cmpx_eq_u32_e32 0, v2
	s_cbranch_execz .LBB2_530
; %bb.529:                              ;   in Loop: Header=BB2_499 Depth=2
	s_bcnt1_i32_b32 s20, s20
	v_mov_b32_e32 v2, s20
	ds_add_u64 v0, v[2:3]
	s_trap 2
.LBB2_530:                              ;   in Loop: Header=BB2_499 Depth=2
	s_or_b32 exec_lo, exec_lo, s19
	s_trap 2
	ds_read_b64 v[8:9], v0
	s_waitcnt lgkmcnt(0)
	buffer_gl0_inv
	v_add_co_u32 v12, vcc_lo, v12, v97
	v_add_co_ci_u32_e64 v13, null, 0, v13, vcc_lo
	s_mov_b32 s19, exec_lo
	v_cmpx_lt_u64_e64 v[8:9], v[12:13]
	s_cbranch_execz .LBB2_539
; %bb.531:                              ;   in Loop: Header=BB2_499 Depth=2
	s_mov_b32 s20, 0
	s_mov_b32 s27, 0
                                        ; implicit-def: $sgpr22
                                        ; implicit-def: $sgpr26
	s_inst_prefetch 0x1
	s_branch .LBB2_533
	.p2align	6
.LBB2_532:                              ;   in Loop: Header=BB2_533 Depth=3
	s_or_b32 exec_lo, exec_lo, s29
	s_and_b32 s28, exec_lo, s78
	s_or_b32 s20, s28, s20
	s_andn2_b32 s22, s22, exec_lo
	s_and_b32 s28, s26, exec_lo
	s_or_b32 s22, s22, s28
	s_andn2_b32 exec_lo, exec_lo, s20
	s_cbranch_execz .LBB2_537
.LBB2_533:                              ;   Parent Loop BB2_47 Depth=1
                                        ;     Parent Loop BB2_499 Depth=2
                                        ; =>    This Inner Loop Header: Depth=3
	s_add_i32 s27, s27, 1
	s_cmpk_lg_i32 s27, 0x2710
	s_cselect_b32 s28, -1, 0
	s_and_b32 vcc_lo, exec_lo, s28
	s_cbranch_vccz .LBB2_535
; %bb.534:                              ;   in Loop: Header=BB2_533 Depth=3
	s_mov_b32 s78, -1
	s_or_b32 s26, s26, exec_lo
	s_and_saveexec_b32 s29, s28
	s_cbranch_execz .LBB2_532
	s_branch .LBB2_536
	.p2align	6
.LBB2_535:                              ;   in Loop: Header=BB2_533 Depth=3
	s_trap 2
	ds_read_b64 v[8:9], v0
	s_andn2_b32 s28, s28, exec_lo
	s_mov_b32 s27, 0
	s_waitcnt lgkmcnt(0)
	flat_load_dword v2, v[8:9] glc dlc
	s_waitcnt vmcnt(0) lgkmcnt(0)
	buffer_gl1_inv
	buffer_gl0_inv
	v_cmp_eq_u32_e32 vcc_lo, 0, v2
	s_and_b32 s29, vcc_lo, exec_lo
	s_or_b32 s28, s28, s29
	s_mov_b32 s78, -1
	s_or_b32 s26, s26, exec_lo
	s_and_saveexec_b32 s29, s28
	s_cbranch_execz .LBB2_532
.LBB2_536:                              ;   in Loop: Header=BB2_533 Depth=3
	s_sleep 1
	s_trap 2
	ds_read_b64 v[8:9], v0
	s_waitcnt lgkmcnt(0)
	buffer_gl0_inv
	s_andn2_b32 s26, s26, exec_lo
	v_cmp_ge_u64_e32 vcc_lo, v[8:9], v[12:13]
	s_orn2_b32 s78, vcc_lo, exec_lo
	s_branch .LBB2_532
.LBB2_537:                              ;   in Loop: Header=BB2_499 Depth=2
	s_inst_prefetch 0x2
	s_or_b32 exec_lo, exec_lo, s20
	s_and_saveexec_b32 s20, s22
	s_xor_b32 s20, exec_lo, s20
	s_cbranch_execz .LBB2_539
; %bb.538:                              ;   in Loop: Header=BB2_499 Depth=2
	ds_write_b32 v0, v101
	s_trap 2
.LBB2_539:                              ;   in Loop: Header=BB2_499 Depth=2
	s_or_b32 exec_lo, exec_lo, s19
	;;#ASMSTART
	s_wakeup
	;;#ASMEND
.LBB2_540:                              ;   in Loop: Header=BB2_499 Depth=2
	s_or_b32 exec_lo, exec_lo, s18
.LBB2_541:                              ;   in Loop: Header=BB2_499 Depth=2
	s_andn2_saveexec_b32 s17, s17
	s_cbranch_execz .LBB2_543
; %bb.542:                              ;   in Loop: Header=BB2_499 Depth=2
	s_waitcnt vmcnt(0) lgkmcnt(0)
	s_waitcnt_vscnt null, 0x0
	buffer_gl1_inv
	buffer_gl0_inv
	s_barrier
.LBB2_543:                              ;   in Loop: Header=BB2_499 Depth=2
	s_or_b32 exec_lo, exec_lo, s17
.LBB2_544:                              ;   in Loop: Header=BB2_499 Depth=2
	s_or_b32 exec_lo, exec_lo, s16
	s_trap 2
	ds_read_b32 v8, v0
	v_and_b32_e32 v2, 0x4000, v87
	s_xor_b32 s16, s5, -1
	v_cmp_ne_u32_e32 vcc_lo, 0, v2
	s_and_b32 s17, s16, vcc_lo
	s_and_saveexec_b32 s16, s17
	s_cbranch_execz .LBB2_563
; %bb.545:                              ;   in Loop: Header=BB2_499 Depth=2
	s_and_saveexec_b32 s17, s44
	s_xor_b32 s17, exec_lo, s17
	s_cbranch_execz .LBB2_560
; %bb.546:                              ;   in Loop: Header=BB2_499 Depth=2
	s_and_saveexec_b32 s18, s11
	s_cbranch_execz .LBB2_559
; %bb.547:                              ;   in Loop: Header=BB2_499 Depth=2
	s_mov_b32 s20, exec_lo
	s_mov_b32 s19, exec_lo
	v_mbcnt_lo_u32_b32 v2, s20, 0
	s_waitcnt vmcnt(0) lgkmcnt(0)
	s_waitcnt_vscnt null, 0x0
	buffer_gl1_inv
	buffer_gl0_inv
	v_cmpx_eq_u32_e32 0, v2
	s_cbranch_execz .LBB2_549
; %bb.548:                              ;   in Loop: Header=BB2_499 Depth=2
	s_bcnt1_i32_b32 s20, s20
	v_mov_b32_e32 v2, s20
	ds_add_u64 v0, v[2:3]
	s_trap 2
.LBB2_549:                              ;   in Loop: Header=BB2_499 Depth=2
	s_or_b32 exec_lo, exec_lo, s19
	s_trap 2
	ds_read_b64 v[9:10], v0
	s_waitcnt lgkmcnt(0)
	buffer_gl0_inv
	v_add_co_u32 v12, vcc_lo, v12, v97
	v_add_co_ci_u32_e64 v13, null, 0, v13, vcc_lo
	s_mov_b32 s19, exec_lo
	v_cmpx_lt_u64_e64 v[9:10], v[12:13]
	s_cbranch_execz .LBB2_558
; %bb.550:                              ;   in Loop: Header=BB2_499 Depth=2
	s_mov_b32 s20, 0
	s_mov_b32 s27, 0
                                        ; implicit-def: $sgpr22
                                        ; implicit-def: $sgpr26
	s_inst_prefetch 0x1
	s_branch .LBB2_552
	.p2align	6
.LBB2_551:                              ;   in Loop: Header=BB2_552 Depth=3
	s_or_b32 exec_lo, exec_lo, s29
	s_and_b32 s28, exec_lo, s78
	s_or_b32 s20, s28, s20
	s_andn2_b32 s22, s22, exec_lo
	s_and_b32 s28, s26, exec_lo
	s_or_b32 s22, s22, s28
	s_andn2_b32 exec_lo, exec_lo, s20
	s_cbranch_execz .LBB2_556
.LBB2_552:                              ;   Parent Loop BB2_47 Depth=1
                                        ;     Parent Loop BB2_499 Depth=2
                                        ; =>    This Inner Loop Header: Depth=3
	s_add_i32 s27, s27, 1
	s_cmpk_lg_i32 s27, 0x2710
	s_cselect_b32 s28, -1, 0
	s_and_b32 vcc_lo, exec_lo, s28
	s_cbranch_vccz .LBB2_554
; %bb.553:                              ;   in Loop: Header=BB2_552 Depth=3
	s_mov_b32 s78, -1
	s_or_b32 s26, s26, exec_lo
	s_and_saveexec_b32 s29, s28
	s_cbranch_execz .LBB2_551
	s_branch .LBB2_555
	.p2align	6
.LBB2_554:                              ;   in Loop: Header=BB2_552 Depth=3
	s_trap 2
	ds_read_b64 v[9:10], v0
	s_andn2_b32 s28, s28, exec_lo
	s_mov_b32 s27, 0
	s_waitcnt lgkmcnt(0)
	flat_load_dword v2, v[9:10] glc dlc
	s_waitcnt vmcnt(0) lgkmcnt(0)
	buffer_gl1_inv
	buffer_gl0_inv
	v_cmp_eq_u32_e32 vcc_lo, 0, v2
	s_and_b32 s29, vcc_lo, exec_lo
	s_or_b32 s28, s28, s29
	s_mov_b32 s78, -1
	s_or_b32 s26, s26, exec_lo
	s_and_saveexec_b32 s29, s28
	s_cbranch_execz .LBB2_551
.LBB2_555:                              ;   in Loop: Header=BB2_552 Depth=3
	s_sleep 1
	s_trap 2
	ds_read_b64 v[9:10], v0
	s_waitcnt lgkmcnt(0)
	buffer_gl0_inv
	s_andn2_b32 s26, s26, exec_lo
	v_cmp_ge_u64_e32 vcc_lo, v[9:10], v[12:13]
	s_orn2_b32 s78, vcc_lo, exec_lo
	s_branch .LBB2_551
.LBB2_556:                              ;   in Loop: Header=BB2_499 Depth=2
	s_inst_prefetch 0x2
	s_or_b32 exec_lo, exec_lo, s20
	s_and_saveexec_b32 s20, s22
	s_xor_b32 s20, exec_lo, s20
	s_cbranch_execz .LBB2_558
; %bb.557:                              ;   in Loop: Header=BB2_499 Depth=2
	ds_write_b32 v0, v101
	s_trap 2
.LBB2_558:                              ;   in Loop: Header=BB2_499 Depth=2
	s_or_b32 exec_lo, exec_lo, s19
	;;#ASMSTART
	s_wakeup
	;;#ASMEND
.LBB2_559:                              ;   in Loop: Header=BB2_499 Depth=2
	s_or_b32 exec_lo, exec_lo, s18
.LBB2_560:                              ;   in Loop: Header=BB2_499 Depth=2
	s_andn2_saveexec_b32 s17, s17
	s_cbranch_execz .LBB2_562
; %bb.561:                              ;   in Loop: Header=BB2_499 Depth=2
	s_waitcnt vmcnt(0) lgkmcnt(0)
	s_waitcnt_vscnt null, 0x0
	buffer_gl1_inv
	buffer_gl0_inv
	s_barrier
.LBB2_562:                              ;   in Loop: Header=BB2_499 Depth=2
	s_or_b32 exec_lo, exec_lo, s17
.LBB2_563:                              ;   in Loop: Header=BB2_499 Depth=2
	s_or_b32 exec_lo, exec_lo, s16
	s_trap 2
	ds_read_b64 v[66:67], v0
	s_waitcnt lgkmcnt(0)
	v_cmp_eq_u64_e32 vcc_lo, 0, v[66:67]
	s_cbranch_vccnz .LBB2_575
; %bb.564:                              ;   in Loop: Header=BB2_499 Depth=2
	s_trap 2
	ds_read_b64 v[68:69], v0
	s_waitcnt lgkmcnt(0)
	v_cmp_eq_u64_e32 vcc_lo, 0, v[68:69]
	s_cbranch_vccnz .LBB2_575
; %bb.565:                              ;   in Loop: Header=BB2_499 Depth=2
	s_trap 2
	ds_read_b64 v[70:71], v0
	v_cmp_eq_u32_e32 vcc_lo, 0, v8
	s_mov_b32 s16, -1
	v_cndmask_b32_e32 v53, 0, v52, vcc_lo
	v_lshlrev_b32_e32 v55, 3, v53
	s_waitcnt lgkmcnt(0)
	v_cmp_ne_u64_e32 vcc_lo, 0, v[70:71]
	s_cbranch_vccz .LBB2_629
; %bb.566:                              ;   in Loop: Header=BB2_499 Depth=2
	s_and_saveexec_b32 s17, s14
	s_cbranch_execz .LBB2_568
; %bb.567:                              ;   in Loop: Header=BB2_499 Depth=2
	ds_read_b32 v2, v0 offset:720
	s_waitcnt lgkmcnt(0)
	v_and_b32_e32 v2, 15, v2
	v_cmp_eq_u32_e32 vcc_lo, 0, v2
	s_orn2_b32 s16, vcc_lo, exec_lo
.LBB2_568:                              ;   in Loop: Header=BB2_499 Depth=2
	s_or_b32 exec_lo, exec_lo, s17
	s_and_saveexec_b32 s17, s14
	s_cbranch_execz .LBB2_570
; %bb.569:                              ;   in Loop: Header=BB2_499 Depth=2
	ds_read_b32 v2, v0 offset:784
	s_waitcnt lgkmcnt(0)
	v_and_b32_e32 v2, 15, v2
	v_cmp_eq_u32_e32 vcc_lo, 0, v2
	s_and_b32 s18, s16, vcc_lo
	s_andn2_b32 s16, s16, exec_lo
	s_and_b32 s18, s18, exec_lo
	s_or_b32 s16, s16, s18
.LBB2_570:                              ;   in Loop: Header=BB2_499 Depth=2
	s_or_b32 exec_lo, exec_lo, s17
	s_xor_b32 s16, s16, -1
	v_cndmask_b32_e64 v2, 0, 1, s16
	s_mov_b32 s16, -1
	v_cmp_ne_u32_e32 vcc_lo, 0, v2
	s_cbranch_vccz .LBB2_580
; %bb.571:                              ;   in Loop: Header=BB2_499 Depth=2
	v_alignbit_b32 v84, v70, v70, 1
	s_mov_b32 s28, -1
	v_readfirstlane_b32 s16, v84
	s_and_b32 s22, s16, 0x7fffffff
	s_mov_b64 s[26:27], s[22:23]
	v_mov_b32_e32 v85, 0
	s_cbranch_execnz .LBB2_581
.LBB2_572:                              ;   in Loop: Header=BB2_499 Depth=2
	v_alignbit_b32 v2, v70, v70, 1
	v_mov_b32_e32 v80, -1
	v_mov_b32_e32 v81, -1
	v_readfirstlane_b32 s29, v2
	s_and_b32 s22, s29, 0x7fffffff
	s_cmp_lt_i32 s22, 1
	s_cbranch_scc1 .LBB2_584
; %bb.573:                              ;   in Loop: Header=BB2_499 Depth=2
	s_cmp_lg_u32 s22, 1
	s_cbranch_scc1 .LBB2_582
; %bb.574:                              ;   in Loop: Header=BB2_499 Depth=2
	s_mov_b32 s20, s23
	s_mov_b64 s[18:19], 1
	s_mov_b64 s[16:17], s[20:21]
	s_branch .LBB2_583
.LBB2_575:                              ;   in Loop: Header=BB2_499 Depth=2
	s_mov_b32 s16, 0
	s_and_saveexec_b32 s17, s6
	s_cbranch_execnz .LBB2_681
.LBB2_576:                              ;   in Loop: Header=BB2_499 Depth=2
	s_or_b32 exec_lo, exec_lo, s17
                                        ; implicit-def: $vgpr2
	s_and_saveexec_b32 s17, s15
	s_xor_b32 s17, exec_lo, s17
	s_cbranch_execz .LBB2_699
.LBB2_577:                              ;   in Loop: Header=BB2_499 Depth=2
	v_and_b32_e32 v2, 16, v87
	v_cmp_ne_u32_e32 vcc_lo, 0, v2
	v_and_b32_e32 v2, 16, v87
	s_and_b32 s18, vcc_lo, s16
	s_and_saveexec_b32 s16, s18
	s_cbranch_execz .LBB2_579
; %bb.578:                              ;   in Loop: Header=BB2_499 Depth=2
	v_mov_b32_e32 v2, 1
	s_waitcnt vmcnt(0) lgkmcnt(0)
	s_waitcnt_vscnt null, 0x0
	buffer_gl1_inv
	buffer_gl0_inv
.LBB2_579:                              ;   in Loop: Header=BB2_499 Depth=2
	s_or_b32 exec_lo, exec_lo, s16
	s_andn2_saveexec_b32 s16, s17
	s_cbranch_execz .LBB2_718
	s_branch .LBB2_700
.LBB2_580:                              ;   in Loop: Header=BB2_499 Depth=2
	s_mov_b32 s28, 0
                                        ; implicit-def: $vgpr84
                                        ; implicit-def: $sgpr26_sgpr27
	v_mov_b32_e32 v85, 0
	s_andn2_b32 vcc_lo, exec_lo, s16
	s_cbranch_vccz .LBB2_572
.LBB2_581:                              ;   in Loop: Header=BB2_499 Depth=2
	v_mov_b32_e32 v60, v55
	v_mov_b32_e32 v2, v0
	;; [unrolled: 1-line block ×3, first 2 shown]
	s_and_saveexec_b32 s78, s28
	s_cbranch_execnz .LBB2_606
	s_branch .LBB2_628
.LBB2_582:                              ;   in Loop: Header=BB2_499 Depth=2
	s_mov_b64 s[18:19], 3
	s_mov_b64 s[16:17], 0
.LBB2_583:                              ;   in Loop: Header=BB2_499 Depth=2
	v_cmp_lt_u64_e64 s19, s[18:19], s[22:23]
	s_or_b32 s20, s17, 2.0
	s_and_b32 s19, s19, exec_lo
	s_cselect_b32 s19, 0, s22
	s_cselect_b32 s17, s17, s20
	s_sub_i32 s18, s18, s19
	s_mov_b32 s19, s23
	s_lshl_b32 s18, s18, 1
	s_or_b32 s20, s17, 0x20000000
	s_or_b32 s18, s18, 1
	v_cmp_lt_u64_e64 s19, s[18:19], s[22:23]
	s_and_b32 s19, s19, exec_lo
	s_cselect_b32 s19, 0, s22
	s_cselect_b32 s17, s17, s20
	s_cselect_b32 s20, 0, 0
	s_sub_u32 s18, s18, s19
	s_subb_u32 s19, 0, s20
	s_or_b32 s26, s17, 0x10000000
	s_lshl_b64 s[18:19], s[18:19], 1
	s_or_b32 s18, s18, 1
	v_cmp_lt_u64_e64 s20, s[18:19], s[22:23]
	s_and_b32 s20, s20, exec_lo
	s_cselect_b32 s20, 0, s22
	s_cselect_b32 s17, s17, s26
	s_cselect_b32 s26, 0, 0
	s_sub_u32 s18, s18, s20
	s_subb_u32 s19, s19, s26
	s_or_b32 s26, s17, 0x8000000
	s_lshl_b64 s[18:19], s[18:19], 1
	;; [unrolled: 10-line block ×30, first 2 shown]
	v_mov_b32_e32 v81, s17
	s_or_b32 s18, s18, 1
	v_cmp_lt_u64_e64 s20, s[18:19], s[22:23]
	s_and_b32 s20, s20, exec_lo
	s_cselect_b32 s20, 0, s22
	s_cselect_b32 s16, s16, s26
	;; [unrolled: 1-line block ×3, first 2 shown]
	s_sub_u32 s18, s18, s20
	s_subb_u32 s19, s19, s26
	s_or_b32 s26, s16, 2.0
	s_lshl_b64 s[18:19], s[18:19], 1
	s_or_b32 s18, s18, 1
	v_cmp_lt_u64_e64 s20, s[18:19], s[22:23]
	s_and_b32 s20, s20, exec_lo
	s_cselect_b32 s20, 0, s22
	s_cselect_b32 s16, s16, s26
	s_cselect_b32 s26, 0, 0
	s_sub_u32 s18, s18, s20
	s_subb_u32 s19, s19, s26
	s_or_b32 s26, s16, 0x20000000
	s_lshl_b64 s[18:19], s[18:19], 1
	s_or_b32 s18, s18, 1
	v_cmp_lt_u64_e64 s20, s[18:19], s[22:23]
	s_and_b32 s20, s20, exec_lo
	s_cselect_b32 s20, 0, s22
	s_cselect_b32 s16, s16, s26
	s_cselect_b32 s26, 0, 0
	s_sub_u32 s18, s18, s20
	s_subb_u32 s19, s19, s26
	s_or_b32 s26, s16, 0x10000000
	;; [unrolled: 10-line block ×29, first 2 shown]
	s_lshl_b64 s[18:19], s[18:19], 1
	s_or_b32 s18, s18, 1
	v_cmp_lt_u64_e64 s20, s[18:19], s[22:23]
	s_and_b32 s20, s20, exec_lo
	s_cselect_b32 s20, 0, s22
	s_cselect_b32 s16, s16, s26
	;; [unrolled: 1-line block ×3, first 2 shown]
	s_sub_u32 s18, s18, s20
	s_subb_u32 s19, s19, s26
	s_lshl_b64 s[18:19], s[18:19], 1
	s_or_b32 s18, s18, 1
	v_cmp_ge_u64_e64 s18, s[18:19], s[22:23]
	v_cndmask_b32_e64 v2, 0, 1, s18
	v_or_b32_e32 v80, s16, v2
.LBB2_584:                              ;   in Loop: Header=BB2_499 Depth=2
	v_ashrrev_i32_e32 v2, 31, v55
	v_sub_nc_u32_e32 v57, v55, v100
	s_mov_b32 s19, exec_lo
	v_lshrrev_b32_e32 v2, 23, v2
	v_add_nc_u32_e32 v2, v55, v2
	v_and_b32_e32 v58, 0xfffffe00, v2
	v_ashrrev_i32_e32 v2, 9, v2
	v_sub_nc_u32_e32 v61, v55, v58
	v_sub_nc_u32_e32 v2, v2, v99
	v_cmp_lt_i32_e64 s16, 15, v61
	v_add_co_ci_u32_e64 v62, null, 0, v2, s16
	v_cmpx_lt_i32_e32 15, v57
	s_cbranch_execz .LBB2_590
; %bb.585:                              ;   in Loop: Header=BB2_499 Depth=2
	s_trap 2
	ds_read_b64 v[8:9], v0
	v_add_co_u32 v82, vcc_lo, v66, v100
	v_add_co_ci_u32_e64 v83, null, 0, v67, vcc_lo
	v_add_co_u32 v59, vcc_lo, v68, v100
	v_add_co_ci_u32_e64 v60, null, 0, v69, vcc_lo
	s_cmp_lt_i32 s29, 0
	s_mov_b32 s20, 0
	s_cselect_b32 s78, -1, 0
	s_waitcnt lgkmcnt(0)
	v_add_co_u32 v84, vcc_lo, v8, v100
	v_add_co_ci_u32_e64 v85, null, 0, v9, vcc_lo
	v_add_co_u32 v63, vcc_lo, v70, v100
	v_add_co_ci_u32_e64 v72, null, 0, v71, vcc_lo
.LBB2_586:                              ;   Parent Loop BB2_47 Depth=1
                                        ;     Parent Loop BB2_499 Depth=2
                                        ; =>    This Loop Header: Depth=3
                                        ;         Child Loop BB2_587 Depth 4
	global_load_dwordx4 v[8:11], v[82:83], off slc
	global_load_dwordx4 v[73:76], v[84:85], off slc
	s_mov_b64 s[26:27], 0
	s_mov_b32 s79, -1
	s_waitcnt vmcnt(0)
	v_add_co_u32 v8, vcc_lo, v73, v8
	v_add_co_ci_u32_e64 v9, null, v74, v9, vcc_lo
	v_sub_co_u32 v2, s17, 0, v8
	v_cmp_gt_i64_e32 vcc_lo, 0, v[8:9]
	v_sub_co_ci_u32_e64 v73, null, 0, v9, s17
	s_and_b32 vcc_lo, s78, vcc_lo
	v_cndmask_b32_e32 v78, v8, v2, vcc_lo
	v_add_co_u32 v8, s17, v75, v10
	v_cndmask_b32_e32 v77, v9, v73, vcc_lo
	v_add_co_ci_u32_e64 v9, null, v76, v11, s17
	v_mul_hi_u32 v2, v78, v80
	v_sub_co_u32 v73, s18, 0, v8
	v_cmp_gt_i64_e64 s17, 0, v[8:9]
	v_mov_b32_e32 v76, v3
	v_mad_u64_u32 v[10:11], null, v77, v80, v[2:3]
	v_sub_co_ci_u32_e64 v2, null, 0, v9, s18
	s_and_b32 s17, s78, s17
	v_cndmask_b32_e64 v88, v8, v73, s17
	v_cndmask_b32_e64 v79, v9, v2, s17
	v_mov_b32_e32 v2, v10
	v_mov_b32_e32 v75, v11
	;; [unrolled: 1-line block ×3, first 2 shown]
	v_mad_u64_u32 v[8:9], null, v78, v81, v[2:3]
	v_mul_hi_u32 v2, v88, v80
	v_mad_u64_u32 v[73:74], null, v79, v80, v[2:3]
	v_mov_b32_e32 v2, v73
	v_mov_b32_e32 v10, v74
	v_mad_u64_u32 v[73:74], null, v77, v81, v[75:76]
	v_mad_u64_u32 v[75:76], null, v88, v81, v[2:3]
	;; [unrolled: 1-line block ×3, first 2 shown]
	v_add_co_u32 v89, s18, v73, v9
	v_add_co_ci_u32_e64 v90, null, 0, v74, s18
	v_add_co_u32 v76, s18, v10, v76
	v_mad_u64_u32 v[8:9], null, v89, s22, 0
	v_add_co_ci_u32_e64 v91, null, 0, v11, s18
	v_mad_u64_u32 v[10:11], null, v76, s22, 0
	v_mov_b32_e32 v2, v9
	v_sub_co_u32 v8, s18, v78, v8
	v_mov_b32_e32 v9, v11
	v_mad_u64_u32 v[73:74], null, v90, s22, v[2:3]
	v_mad_u64_u32 v[74:75], null, v91, s22, v[9:10]
	v_sub_co_ci_u32_e64 v9, null, v77, v73, s18
	v_sub_co_u32 v10, s18, v88, v10
	v_sub_co_ci_u32_e64 v11, null, v79, v74, s18
	v_cmp_le_u64_e64 s18, s[22:23], v[8:9]
	v_cndmask_b32_e64 v2, 0, 1, s18
	v_cmp_le_u64_e64 s18, s[22:23], v[10:11]
	v_cndmask_b32_e64 v8, 0, 1, s18
	v_add_co_u32 v2, s18, v89, v2
	v_add_co_ci_u32_e64 v9, null, 0, v90, s18
	v_add_co_u32 v10, s18, v76, v8
	v_add_co_ci_u32_e64 v11, null, 0, v91, s18
	v_sub_co_u32 v8, s18, 0, v2
	v_sub_co_ci_u32_e64 v73, null, 0, v9, s18
	v_sub_co_u32 v74, s18, 0, v10
	v_sub_co_ci_u32_e64 v75, null, 0, v11, s18
	v_cndmask_b32_e32 v9, v9, v73, vcc_lo
	v_cndmask_b32_e32 v8, v2, v8, vcc_lo
	v_cndmask_b32_e64 v10, v10, v74, s17
	v_cndmask_b32_e64 v11, v11, v75, s17
	.p2align	6
.LBB2_587:                              ;   Parent Loop BB2_47 Depth=1
                                        ;     Parent Loop BB2_499 Depth=2
                                        ;       Parent Loop BB2_586 Depth=3
                                        ; =>      This Inner Loop Header: Depth=4
	s_cmp_eq_u32 s26, 1
	s_cselect_b32 vcc_lo, -1, 0
	s_cmp_eq_u32 s26, 0
	v_cndmask_b32_e32 v73, v59, v63, vcc_lo
	v_cndmask_b32_e32 v74, v60, v72, vcc_lo
	s_mov_b64 s[26:27], 1
	v_add_co_u32 v2, s17, 0x200, v73
	v_add_co_ci_u32_e64 v75, null, 0, v74, s17
	s_cselect_b32 s17, -1, 0
	v_cndmask_b32_e32 v63, v63, v2, vcc_lo
	v_cndmask_b32_e64 v59, v59, v2, s17
	v_cndmask_b32_e32 v72, v72, v75, vcc_lo
	v_cndmask_b32_e64 v60, v60, v75, s17
	s_and_b32 s18, exec_lo, s79
	s_mov_b32 s79, 0
	s_mov_b32 vcc_lo, s18
	global_store_dwordx4 v[73:74], v[8:11], off glc slc
	s_cbranch_vccnz .LBB2_587
; %bb.588:                              ;   in Loop: Header=BB2_586 Depth=3
	v_add_co_u32 v82, vcc_lo, v82, v42
	v_sub_nc_u32_e32 v57, v57, v113
	v_add_co_ci_u32_e64 v83, null, v83, v43, vcc_lo
	v_add_co_u32 v84, vcc_lo, v84, v42
	v_add_co_ci_u32_e64 v85, null, v85, v43, vcc_lo
	v_add_co_u32 v59, vcc_lo, v59, v116
	v_add_co_ci_u32_e64 v60, null, v60, v119, vcc_lo
	v_cmp_gt_i32_e32 vcc_lo, 16, v57
	v_add_co_u32 v63, s17, v63, v116
	v_add_co_ci_u32_e64 v72, null, v72, v119, s17
	v_sub_nc_u32_e32 v62, v62, v97
	s_or_b32 s20, vcc_lo, s20
	s_andn2_b32 exec_lo, exec_lo, s20
	s_cbranch_execnz .LBB2_586
; %bb.589:                              ;   in Loop: Header=BB2_499 Depth=2
	s_or_b32 exec_lo, exec_lo, s20
.LBB2_590:                              ;   in Loop: Header=BB2_499 Depth=2
	s_or_b32 exec_lo, exec_lo, s19
	v_and_b32_e32 v8, 8, v55
	s_mov_b32 s78, exec_lo
                                        ; implicit-def: $vgpr60
                                        ; implicit-def: $vgpr85
                                        ; implicit-def: $vgpr2
                                        ; implicit-def: $vgpr57
	v_cndmask_b32_e64 v59, v61, v8, s16
	v_cmpx_ne_u32_e32 0, v59
	s_cbranch_execz .LBB2_605
; %bb.591:                              ;   in Loop: Header=BB2_499 Depth=2
	v_mov_b32_e32 v80, -1
	v_mov_b32_e32 v81, -1
	s_cmp_lt_i32 s22, 1
	s_cbranch_scc1 .LBB2_596
; %bb.592:                              ;   in Loop: Header=BB2_499 Depth=2
	s_cmp_lg_u32 s22, 1
	s_cbranch_scc1 .LBB2_594
; %bb.593:                              ;   in Loop: Header=BB2_499 Depth=2
	s_mov_b32 s20, s23
	s_mov_b64 s[26:27], 1
	s_mov_b64 s[18:19], s[20:21]
	s_branch .LBB2_595
.LBB2_594:                              ;   in Loop: Header=BB2_499 Depth=2
	s_mov_b64 s[26:27], 3
	s_mov_b64 s[18:19], 0
.LBB2_595:                              ;   in Loop: Header=BB2_499 Depth=2
	v_cmp_lt_u64_e64 s17, s[26:27], s[22:23]
	s_or_b32 s20, s19, 2.0
	s_mov_b32 s27, s23
	s_and_b32 s17, s17, exec_lo
	s_cselect_b32 s17, 0, s22
	s_cselect_b32 s19, s19, s20
	s_sub_i32 s17, s26, s17
	s_or_b32 s20, s19, 0x20000000
	s_lshl_b32 s17, s17, 1
	s_or_b32 s26, s17, 1
	v_cmp_lt_u64_e64 s17, s[26:27], s[22:23]
	s_and_b32 s17, s17, exec_lo
	s_cselect_b32 s17, s19, s20
	s_cselect_b32 s19, 0, s22
	s_cselect_b32 s20, 0, 0
	s_sub_u32 s26, s26, s19
	s_subb_u32 s27, 0, s20
	s_or_b32 s20, s17, 0x10000000
	s_lshl_b64 s[26:27], s[26:27], 1
	s_or_b32 s26, s26, 1
	v_cmp_lt_u64_e64 s19, s[26:27], s[22:23]
	s_and_b32 s19, s19, exec_lo
	s_cselect_b32 s19, 0, s22
	s_cselect_b32 s17, s17, s20
	s_cselect_b32 s20, 0, 0
	s_sub_u32 s26, s26, s19
	s_subb_u32 s27, s27, s20
	s_or_b32 s20, s17, 0x8000000
	s_lshl_b64 s[26:27], s[26:27], 1
	;; [unrolled: 10-line block ×30, first 2 shown]
	v_mov_b32_e32 v81, s17
	s_or_b32 s26, s26, 1
	v_cmp_lt_u64_e64 s19, s[26:27], s[22:23]
	s_and_b32 s19, s19, exec_lo
	s_cselect_b32 s20, s18, s20
	s_cselect_b32 s18, 0, s22
	;; [unrolled: 1-line block ×3, first 2 shown]
	s_sub_u32 s18, s26, s18
	s_subb_u32 s19, s27, s19
	s_or_b32 s27, s20, 2.0
	s_lshl_b64 s[18:19], s[18:19], 1
	s_or_b32 s18, s18, 1
	v_cmp_lt_u64_e64 s26, s[18:19], s[22:23]
	s_and_b32 s26, s26, exec_lo
	s_cselect_b32 s26, 0, s22
	s_cselect_b32 s20, s20, s27
	s_cselect_b32 s27, 0, 0
	s_sub_u32 s18, s18, s26
	s_subb_u32 s19, s19, s27
	s_or_b32 s27, s20, 0x20000000
	s_lshl_b64 s[18:19], s[18:19], 1
	s_or_b32 s18, s18, 1
	v_cmp_lt_u64_e64 s26, s[18:19], s[22:23]
	s_and_b32 s26, s26, exec_lo
	s_cselect_b32 s26, 0, s22
	s_cselect_b32 s20, s20, s27
	s_cselect_b32 s27, 0, 0
	s_sub_u32 s18, s18, s26
	s_subb_u32 s19, s19, s27
	s_or_b32 s27, s20, 0x10000000
	;; [unrolled: 10-line block ×29, first 2 shown]
	s_lshl_b64 s[18:19], s[18:19], 1
	s_or_b32 s18, s18, 1
	v_cmp_lt_u64_e64 s26, s[18:19], s[22:23]
	s_and_b32 s26, s26, exec_lo
	s_cselect_b32 s26, 0, s22
	s_cselect_b32 s20, s20, s27
	;; [unrolled: 1-line block ×3, first 2 shown]
	s_sub_u32 s18, s18, s26
	s_subb_u32 s19, s19, s27
	s_lshl_b64 s[18:19], s[18:19], 1
	s_or_b32 s18, s18, 1
	v_cmp_ge_u64_e64 s18, s[18:19], s[22:23]
	v_cndmask_b32_e64 v2, 0, 1, s18
	v_or_b32_e32 v80, s20, v2
.LBB2_596:                              ;   in Loop: Header=BB2_499 Depth=2
	v_cmp_lt_i32_e32 vcc_lo, 0, v62
	v_ashrrev_i32_e32 v10, 31, v59
	v_sub_nc_u32_e32 v8, v61, v8
	s_mov_b32 s19, exec_lo
	v_cndmask_b32_e32 v2, 0, v97, vcc_lo
	v_lshrrev_b32_e32 v10, 23, v10
	v_cndmask_b32_e64 v8, 0, v8, s16
	v_sub_nc_u32_e32 v2, v2, v62
	v_add_nc_u32_e32 v10, v59, v10
	v_add_nc_u32_e32 v58, v8, v58
	v_lshl_or_b32 v2, v2, 5, v98
	v_and_b32_e32 v62, 0xfffffe00, v10
	v_ashrrev_i32_e32 v10, 9, v10
	v_ashrrev_i32_e32 v9, 31, v2
	v_sub_nc_u32_e32 v61, v59, v62
	v_lshrrev_b32_e32 v9, 27, v9
	v_cmp_lt_i32_e64 s16, 15, v61
	v_add_nc_u32_e32 v9, v2, v9
	v_add_co_ci_u32_e64 v10, null, 0, v10, s16
	v_and_b32_e32 v11, 0xffffffe0, v9
	v_ashrrev_i32_e32 v9, 5, v9
	v_sub_nc_u32_e32 v63, v2, v11
	v_sub_nc_u32_e32 v72, v10, v9
	v_lshlrev_b32_e32 v2, 4, v63
	v_lshl_add_u32 v2, v9, 9, v2
	v_sub_nc_u32_e32 v57, v59, v2
	v_cmpx_lt_i32_e32 15, v57
	s_cbranch_execz .LBB2_602
; %bb.597:                              ;   in Loop: Header=BB2_499 Depth=2
	s_trap 2
	ds_read_b64 v[8:9], v0
	v_add_nc_u32_e32 v2, v2, v58
	s_cmp_lt_i32 s29, 0
	s_mov_b32 s20, 0
	s_cselect_b32 s79, -1, 0
	v_ashrrev_i32_e32 v10, 31, v2
	v_add_co_u32 v82, vcc_lo, v2, v66
	v_add_co_ci_u32_e64 v83, null, v10, v67, vcc_lo
	v_add_co_u32 v60, vcc_lo, v2, v68
	v_add_co_ci_u32_e64 v73, null, v10, v69, vcc_lo
	s_waitcnt lgkmcnt(0)
	v_add_co_u32 v84, vcc_lo, v8, v2
	v_add_co_ci_u32_e64 v85, null, v9, v10, vcc_lo
	v_add_co_u32 v74, vcc_lo, v2, v70
	v_add_co_ci_u32_e64 v75, null, v10, v71, vcc_lo
.LBB2_598:                              ;   Parent Loop BB2_47 Depth=1
                                        ;     Parent Loop BB2_499 Depth=2
                                        ; =>    This Loop Header: Depth=3
                                        ;         Child Loop BB2_599 Depth 4
	global_load_dwordx4 v[8:11], v[82:83], off slc
	global_load_dwordx4 v[76:79], v[84:85], off slc
	s_mov_b64 s[26:27], 0
	s_mov_b32 s88, -1
	s_waitcnt vmcnt(0)
	v_add_co_u32 v8, vcc_lo, v76, v8
	v_add_co_ci_u32_e64 v9, null, v77, v9, vcc_lo
	v_sub_co_u32 v2, s17, 0, v8
	v_cmp_gt_i64_e32 vcc_lo, 0, v[8:9]
	v_sub_co_ci_u32_e64 v76, null, 0, v9, s17
	s_and_b32 vcc_lo, s79, vcc_lo
	v_cndmask_b32_e32 v89, v8, v2, vcc_lo
	v_add_co_u32 v8, s17, v78, v10
	v_cndmask_b32_e32 v88, v9, v76, vcc_lo
	v_add_co_ci_u32_e64 v9, null, v79, v11, s17
	v_mul_hi_u32 v2, v89, v80
	v_sub_co_u32 v76, s18, 0, v8
	v_cmp_gt_i64_e64 s17, 0, v[8:9]
	v_mov_b32_e32 v79, v3
	v_mad_u64_u32 v[10:11], null, v88, v80, v[2:3]
	v_sub_co_ci_u32_e64 v2, null, 0, v9, s18
	s_and_b32 s17, s79, s17
	v_cndmask_b32_e64 v91, v8, v76, s17
	v_cndmask_b32_e64 v90, v9, v2, s17
	v_mov_b32_e32 v2, v10
	v_mov_b32_e32 v78, v11
	;; [unrolled: 1-line block ×3, first 2 shown]
	v_mad_u64_u32 v[8:9], null, v89, v81, v[2:3]
	v_mul_hi_u32 v2, v91, v80
	v_mad_u64_u32 v[76:77], null, v90, v80, v[2:3]
	v_mov_b32_e32 v2, v76
	v_mov_b32_e32 v10, v77
	v_mad_u64_u32 v[76:77], null, v88, v81, v[78:79]
	v_mad_u64_u32 v[78:79], null, v91, v81, v[2:3]
	;; [unrolled: 1-line block ×3, first 2 shown]
	v_add_co_u32 v92, s18, v76, v9
	v_add_co_ci_u32_e64 v93, null, 0, v77, s18
	v_add_co_u32 v79, s18, v10, v79
	v_mad_u64_u32 v[8:9], null, v92, s22, 0
	v_add_co_ci_u32_e64 v94, null, 0, v11, s18
	v_mad_u64_u32 v[10:11], null, v79, s22, 0
	v_mov_b32_e32 v2, v9
	v_sub_co_u32 v8, s18, v89, v8
	v_mov_b32_e32 v9, v11
	v_mad_u64_u32 v[76:77], null, v93, s22, v[2:3]
	v_mad_u64_u32 v[77:78], null, v94, s22, v[9:10]
	v_sub_co_ci_u32_e64 v9, null, v88, v76, s18
	v_sub_co_u32 v10, s18, v91, v10
	v_sub_co_ci_u32_e64 v11, null, v90, v77, s18
	v_cmp_le_u64_e64 s18, s[22:23], v[8:9]
	v_cndmask_b32_e64 v2, 0, 1, s18
	v_cmp_le_u64_e64 s18, s[22:23], v[10:11]
	v_cndmask_b32_e64 v8, 0, 1, s18
	v_add_co_u32 v2, s18, v92, v2
	v_add_co_ci_u32_e64 v9, null, 0, v93, s18
	v_add_co_u32 v10, s18, v79, v8
	v_add_co_ci_u32_e64 v11, null, 0, v94, s18
	v_sub_co_u32 v8, s18, 0, v2
	v_sub_co_ci_u32_e64 v76, null, 0, v9, s18
	v_sub_co_u32 v77, s18, 0, v10
	v_sub_co_ci_u32_e64 v78, null, 0, v11, s18
	v_cndmask_b32_e32 v9, v9, v76, vcc_lo
	v_cndmask_b32_e32 v8, v2, v8, vcc_lo
	v_cndmask_b32_e64 v10, v10, v77, s17
	v_cndmask_b32_e64 v11, v11, v78, s17
	.p2align	6
.LBB2_599:                              ;   Parent Loop BB2_47 Depth=1
                                        ;     Parent Loop BB2_499 Depth=2
                                        ;       Parent Loop BB2_598 Depth=3
                                        ; =>      This Inner Loop Header: Depth=4
	s_cmp_eq_u32 s26, 1
	s_cselect_b32 vcc_lo, -1, 0
	s_cmp_eq_u32 s26, 0
	v_cndmask_b32_e32 v76, v60, v74, vcc_lo
	v_cndmask_b32_e32 v77, v73, v75, vcc_lo
	s_mov_b64 s[26:27], 1
	v_add_co_u32 v2, s17, 0x200, v76
	v_add_co_ci_u32_e64 v78, null, 0, v77, s17
	s_cselect_b32 s17, -1, 0
	v_cndmask_b32_e32 v74, v74, v2, vcc_lo
	v_cndmask_b32_e64 v60, v60, v2, s17
	v_cndmask_b32_e32 v75, v75, v78, vcc_lo
	v_cndmask_b32_e64 v73, v73, v78, s17
	s_and_b32 s18, exec_lo, s88
	s_mov_b32 s88, 0
	s_mov_b32 vcc_lo, s18
	global_store_dwordx4 v[76:77], v[8:11], off glc slc
	s_cbranch_vccnz .LBB2_599
; %bb.600:                              ;   in Loop: Header=BB2_598 Depth=3
	v_add_co_u32 v82, vcc_lo, v82, v42
	v_sub_nc_u32_e32 v57, v57, v113
	v_add_co_ci_u32_e64 v83, null, v83, v43, vcc_lo
	v_add_co_u32 v84, vcc_lo, v84, v42
	v_add_co_ci_u32_e64 v85, null, v85, v43, vcc_lo
	v_add_co_u32 v60, vcc_lo, v60, v116
	v_add_co_ci_u32_e64 v73, null, v73, v119, vcc_lo
	v_cmp_gt_i32_e32 vcc_lo, 16, v57
	v_add_co_u32 v74, s17, v74, v116
	v_add_co_ci_u32_e64 v75, null, v75, v119, s17
	v_sub_nc_u32_e32 v72, v72, v97
	s_or_b32 s20, vcc_lo, s20
	s_andn2_b32 exec_lo, exec_lo, s20
	s_cbranch_execnz .LBB2_598
; %bb.601:                              ;   in Loop: Header=BB2_499 Depth=2
	s_or_b32 exec_lo, exec_lo, s20
.LBB2_602:                              ;   in Loop: Header=BB2_499 Depth=2
	s_or_b32 exec_lo, exec_lo, s19
	v_and_b32_e32 v8, 8, v59
	s_mov_b32 s18, s28
	s_mov_b32 s17, exec_lo
                                        ; implicit-def: $vgpr85
                                        ; implicit-def: $vgpr2
                                        ; implicit-def: $vgpr57
	v_cndmask_b32_e64 v60, v61, v8, s16
	v_cmpx_ne_u32_e32 0, v60
	s_cbranch_execz .LBB2_604
; %bb.603:                              ;   in Loop: Header=BB2_499 Depth=2
	v_cmp_lt_i32_e32 vcc_lo, 0, v72
	v_sub_nc_u32_e32 v8, v61, v8
	s_or_b32 s18, s28, exec_lo
	v_cndmask_b32_e32 v2, 0, v97, vcc_lo
	v_cndmask_b32_e64 v8, 0, v8, s16
	v_sub_nc_u32_e32 v2, v2, v72
	v_add3_u32 v85, v62, v58, v8
	v_lshl_add_u32 v2, v2, 5, v63
	v_ashrrev_i32_e32 v9, 31, v2
	v_lshrrev_b32_e32 v9, 27, v9
	v_add_nc_u32_e32 v9, v2, v9
	v_and_b32_e32 v9, 0xffffffe0, v9
	v_sub_nc_u32_e32 v57, v2, v9
.LBB2_604:                              ;   in Loop: Header=BB2_499 Depth=2
	s_or_b32 exec_lo, exec_lo, s17
	s_andn2_b32 s16, s28, exec_lo
	s_and_b32 s17, s18, exec_lo
	s_or_b32 s28, s16, s17
.LBB2_605:                              ;   in Loop: Header=BB2_499 Depth=2
	s_or_b32 exec_lo, exec_lo, s78
	v_mov_b32_e32 v84, s29
	s_mov_b64 s[26:27], s[22:23]
	s_and_saveexec_b32 s78, s28
	s_cbranch_execz .LBB2_628
.LBB2_606:                              ;   in Loop: Header=BB2_499 Depth=2
	v_mov_b32_e32 v8, -1
	v_mov_b32_e32 v9, -1
	s_cmp_lt_i32 s22, 1
	s_cbranch_scc1 .LBB2_611
; %bb.607:                              ;   in Loop: Header=BB2_499 Depth=2
	s_cmp_lg_u32 s22, 1
	s_cbranch_scc1 .LBB2_609
; %bb.608:                              ;   in Loop: Header=BB2_499 Depth=2
	s_mov_b32 s20, s23
	s_mov_b64 s[18:19], 1
	s_mov_b64 s[16:17], s[20:21]
	s_branch .LBB2_610
.LBB2_609:                              ;   in Loop: Header=BB2_499 Depth=2
	s_mov_b64 s[18:19], 3
	s_mov_b64 s[16:17], 0
.LBB2_610:                              ;   in Loop: Header=BB2_499 Depth=2
	v_cmp_lt_u64_e64 s19, s[18:19], s[26:27]
	s_or_b32 s20, s17, 2.0
	s_and_b32 s19, s19, exec_lo
	s_cselect_b32 s19, 0, s26
	s_cselect_b32 s17, s17, s20
	s_sub_i32 s18, s18, s19
	s_mov_b32 s19, s23
	s_lshl_b32 s18, s18, 1
	s_or_b32 s20, s17, 0x20000000
	s_or_b32 s18, s18, 1
	v_cmp_lt_u64_e64 s19, s[18:19], s[26:27]
	s_and_b32 s19, s19, exec_lo
	s_cselect_b32 s19, 0, s26
	s_cselect_b32 s17, s17, s20
	s_cselect_b32 s20, 0, s27
	s_sub_u32 s18, s18, s19
	s_subb_u32 s19, 0, s20
	s_or_b32 s28, s17, 0x10000000
	s_lshl_b64 s[18:19], s[18:19], 1
	s_or_b32 s18, s18, 1
	v_cmp_lt_u64_e64 s20, s[18:19], s[26:27]
	s_and_b32 s20, s20, exec_lo
	s_cselect_b32 s20, 0, s26
	s_cselect_b32 s17, s17, s28
	s_cselect_b32 s28, 0, s27
	s_sub_u32 s18, s18, s20
	s_subb_u32 s19, s19, s28
	s_or_b32 s28, s17, 0x8000000
	s_lshl_b64 s[18:19], s[18:19], 1
	s_or_b32 s18, s18, 1
	v_cmp_lt_u64_e64 s20, s[18:19], s[26:27]
	s_and_b32 s20, s20, exec_lo
	s_cselect_b32 s20, 0, s26
	s_cselect_b32 s17, s17, s28
	s_cselect_b32 s28, 0, s27
	s_sub_u32 s18, s18, s20
	s_subb_u32 s19, s19, s28
	s_or_b32 s28, s17, 0x4000000
	s_lshl_b64 s[18:19], s[18:19], 1
	s_or_b32 s18, s18, 1
	v_cmp_lt_u64_e64 s20, s[18:19], s[26:27]
	s_and_b32 s20, s20, exec_lo
	s_cselect_b32 s20, 0, s26
	s_cselect_b32 s17, s17, s28
	s_cselect_b32 s28, 0, s27
	s_sub_u32 s18, s18, s20
	s_subb_u32 s19, s19, s28
	s_or_b32 s28, s17, 0x2000000
	s_lshl_b64 s[18:19], s[18:19], 1
	s_or_b32 s18, s18, 1
	v_cmp_lt_u64_e64 s20, s[18:19], s[26:27]
	s_and_b32 s20, s20, exec_lo
	s_cselect_b32 s20, 0, s26
	s_cselect_b32 s17, s17, s28
	s_cselect_b32 s28, 0, s27
	s_sub_u32 s18, s18, s20
	s_subb_u32 s19, s19, s28
	s_or_b32 s28, s17, 0x1000000
	s_lshl_b64 s[18:19], s[18:19], 1
	s_or_b32 s18, s18, 1
	v_cmp_lt_u64_e64 s20, s[18:19], s[26:27]
	s_and_b32 s20, s20, exec_lo
	s_cselect_b32 s20, 0, s26
	s_cselect_b32 s17, s17, s28
	s_cselect_b32 s28, 0, s27
	s_sub_u32 s18, s18, s20
	s_subb_u32 s19, s19, s28
	s_or_b32 s28, s17, 0x800000
	s_lshl_b64 s[18:19], s[18:19], 1
	s_or_b32 s18, s18, 1
	v_cmp_lt_u64_e64 s20, s[18:19], s[26:27]
	s_and_b32 s20, s20, exec_lo
	s_cselect_b32 s20, 0, s26
	s_cselect_b32 s17, s17, s28
	s_cselect_b32 s28, 0, s27
	s_sub_u32 s18, s18, s20
	s_subb_u32 s19, s19, s28
	s_or_b32 s28, s17, 0x400000
	s_lshl_b64 s[18:19], s[18:19], 1
	s_or_b32 s18, s18, 1
	v_cmp_lt_u64_e64 s20, s[18:19], s[26:27]
	s_and_b32 s20, s20, exec_lo
	s_cselect_b32 s20, 0, s26
	s_cselect_b32 s17, s17, s28
	s_cselect_b32 s28, 0, s27
	s_sub_u32 s18, s18, s20
	s_subb_u32 s19, s19, s28
	s_or_b32 s28, s17, 0x200000
	s_lshl_b64 s[18:19], s[18:19], 1
	s_or_b32 s18, s18, 1
	v_cmp_lt_u64_e64 s20, s[18:19], s[26:27]
	s_and_b32 s20, s20, exec_lo
	s_cselect_b32 s20, 0, s26
	s_cselect_b32 s17, s17, s28
	s_cselect_b32 s28, 0, s27
	s_sub_u32 s18, s18, s20
	s_subb_u32 s19, s19, s28
	s_or_b32 s28, s17, 0x100000
	s_lshl_b64 s[18:19], s[18:19], 1
	s_or_b32 s18, s18, 1
	v_cmp_lt_u64_e64 s20, s[18:19], s[26:27]
	s_and_b32 s20, s20, exec_lo
	s_cselect_b32 s20, 0, s26
	s_cselect_b32 s17, s17, s28
	s_cselect_b32 s28, 0, s27
	s_sub_u32 s18, s18, s20
	s_subb_u32 s19, s19, s28
	s_or_b32 s28, s17, 0x80000
	s_lshl_b64 s[18:19], s[18:19], 1
	s_or_b32 s18, s18, 1
	v_cmp_lt_u64_e64 s20, s[18:19], s[26:27]
	s_and_b32 s20, s20, exec_lo
	s_cselect_b32 s20, 0, s26
	s_cselect_b32 s17, s17, s28
	s_cselect_b32 s28, 0, s27
	s_sub_u32 s18, s18, s20
	s_subb_u32 s19, s19, s28
	s_or_b32 s28, s17, 0x40000
	s_lshl_b64 s[18:19], s[18:19], 1
	s_or_b32 s18, s18, 1
	v_cmp_lt_u64_e64 s20, s[18:19], s[26:27]
	s_and_b32 s20, s20, exec_lo
	s_cselect_b32 s20, 0, s26
	s_cselect_b32 s17, s17, s28
	s_cselect_b32 s28, 0, s27
	s_sub_u32 s18, s18, s20
	s_subb_u32 s19, s19, s28
	s_or_b32 s28, s17, 0x20000
	s_lshl_b64 s[18:19], s[18:19], 1
	s_or_b32 s18, s18, 1
	v_cmp_lt_u64_e64 s20, s[18:19], s[26:27]
	s_and_b32 s20, s20, exec_lo
	s_cselect_b32 s20, 0, s26
	s_cselect_b32 s17, s17, s28
	s_cselect_b32 s28, 0, s27
	s_sub_u32 s18, s18, s20
	s_subb_u32 s19, s19, s28
	s_or_b32 s28, s17, 0x10000
	s_lshl_b64 s[18:19], s[18:19], 1
	s_or_b32 s18, s18, 1
	v_cmp_lt_u64_e64 s20, s[18:19], s[26:27]
	s_and_b32 s20, s20, exec_lo
	s_cselect_b32 s20, 0, s26
	s_cselect_b32 s17, s17, s28
	s_cselect_b32 s28, 0, s27
	s_sub_u32 s18, s18, s20
	s_subb_u32 s19, s19, s28
	s_or_b32 s28, s17, 0x8000
	s_lshl_b64 s[18:19], s[18:19], 1
	s_or_b32 s18, s18, 1
	v_cmp_lt_u64_e64 s20, s[18:19], s[26:27]
	s_and_b32 s20, s20, exec_lo
	s_cselect_b32 s20, 0, s26
	s_cselect_b32 s17, s17, s28
	s_cselect_b32 s28, 0, s27
	s_sub_u32 s18, s18, s20
	s_subb_u32 s19, s19, s28
	s_or_b32 s28, s17, 0x4000
	s_lshl_b64 s[18:19], s[18:19], 1
	s_or_b32 s18, s18, 1
	v_cmp_lt_u64_e64 s20, s[18:19], s[26:27]
	s_and_b32 s20, s20, exec_lo
	s_cselect_b32 s20, 0, s26
	s_cselect_b32 s17, s17, s28
	s_cselect_b32 s28, 0, s27
	s_sub_u32 s18, s18, s20
	s_subb_u32 s19, s19, s28
	s_or_b32 s28, s17, 0x2000
	s_lshl_b64 s[18:19], s[18:19], 1
	s_or_b32 s18, s18, 1
	v_cmp_lt_u64_e64 s20, s[18:19], s[26:27]
	s_and_b32 s20, s20, exec_lo
	s_cselect_b32 s20, 0, s26
	s_cselect_b32 s17, s17, s28
	s_cselect_b32 s28, 0, s27
	s_sub_u32 s18, s18, s20
	s_subb_u32 s19, s19, s28
	s_or_b32 s28, s17, 0x1000
	s_lshl_b64 s[18:19], s[18:19], 1
	s_or_b32 s18, s18, 1
	v_cmp_lt_u64_e64 s20, s[18:19], s[26:27]
	s_and_b32 s20, s20, exec_lo
	s_cselect_b32 s20, 0, s26
	s_cselect_b32 s17, s17, s28
	s_cselect_b32 s28, 0, s27
	s_sub_u32 s18, s18, s20
	s_subb_u32 s19, s19, s28
	s_or_b32 s28, s17, 0x800
	s_lshl_b64 s[18:19], s[18:19], 1
	s_or_b32 s18, s18, 1
	v_cmp_lt_u64_e64 s20, s[18:19], s[26:27]
	s_and_b32 s20, s20, exec_lo
	s_cselect_b32 s20, 0, s26
	s_cselect_b32 s17, s17, s28
	s_cselect_b32 s28, 0, s27
	s_sub_u32 s18, s18, s20
	s_subb_u32 s19, s19, s28
	s_or_b32 s28, s17, 0x400
	s_lshl_b64 s[18:19], s[18:19], 1
	s_or_b32 s18, s18, 1
	v_cmp_lt_u64_e64 s20, s[18:19], s[26:27]
	s_and_b32 s20, s20, exec_lo
	s_cselect_b32 s20, 0, s26
	s_cselect_b32 s17, s17, s28
	s_cselect_b32 s28, 0, s27
	s_sub_u32 s18, s18, s20
	s_subb_u32 s19, s19, s28
	s_or_b32 s28, s17, 0x200
	s_lshl_b64 s[18:19], s[18:19], 1
	s_or_b32 s18, s18, 1
	v_cmp_lt_u64_e64 s20, s[18:19], s[26:27]
	s_and_b32 s20, s20, exec_lo
	s_cselect_b32 s20, 0, s26
	s_cselect_b32 s17, s17, s28
	s_cselect_b32 s28, 0, s27
	s_sub_u32 s18, s18, s20
	s_subb_u32 s19, s19, s28
	s_or_b32 s28, s17, 0x100
	s_lshl_b64 s[18:19], s[18:19], 1
	s_or_b32 s18, s18, 1
	v_cmp_lt_u64_e64 s20, s[18:19], s[26:27]
	s_and_b32 s20, s20, exec_lo
	s_cselect_b32 s20, 0, s26
	s_cselect_b32 s17, s17, s28
	s_cselect_b32 s28, 0, s27
	s_sub_u32 s18, s18, s20
	s_subb_u32 s19, s19, s28
	s_or_b32 s28, s17, 0x80
	s_lshl_b64 s[18:19], s[18:19], 1
	s_or_b32 s18, s18, 1
	v_cmp_lt_u64_e64 s20, s[18:19], s[26:27]
	s_and_b32 s20, s20, exec_lo
	s_cselect_b32 s20, 0, s26
	s_cselect_b32 s17, s17, s28
	s_cselect_b32 s28, 0, s27
	s_sub_u32 s18, s18, s20
	s_subb_u32 s19, s19, s28
	s_or_b32 s28, s17, 64
	s_lshl_b64 s[18:19], s[18:19], 1
	s_or_b32 s18, s18, 1
	v_cmp_lt_u64_e64 s20, s[18:19], s[26:27]
	s_and_b32 s20, s20, exec_lo
	s_cselect_b32 s20, 0, s26
	s_cselect_b32 s17, s17, s28
	s_cselect_b32 s28, 0, s27
	s_sub_u32 s18, s18, s20
	s_subb_u32 s19, s19, s28
	s_or_b32 s28, s17, 32
	s_lshl_b64 s[18:19], s[18:19], 1
	s_or_b32 s18, s18, 1
	v_cmp_lt_u64_e64 s20, s[18:19], s[26:27]
	s_and_b32 s20, s20, exec_lo
	s_cselect_b32 s20, 0, s26
	s_cselect_b32 s17, s17, s28
	s_cselect_b32 s28, 0, s27
	s_sub_u32 s18, s18, s20
	s_subb_u32 s19, s19, s28
	s_or_b32 s28, s17, 16
	s_lshl_b64 s[18:19], s[18:19], 1
	s_or_b32 s18, s18, 1
	v_cmp_lt_u64_e64 s20, s[18:19], s[26:27]
	s_and_b32 s20, s20, exec_lo
	s_cselect_b32 s20, 0, s26
	s_cselect_b32 s17, s17, s28
	s_cselect_b32 s28, 0, s27
	s_sub_u32 s18, s18, s20
	s_subb_u32 s19, s19, s28
	s_or_b32 s28, s17, 8
	s_lshl_b64 s[18:19], s[18:19], 1
	s_or_b32 s18, s18, 1
	v_cmp_lt_u64_e64 s20, s[18:19], s[26:27]
	s_and_b32 s20, s20, exec_lo
	s_cselect_b32 s20, 0, s26
	s_cselect_b32 s17, s17, s28
	s_cselect_b32 s28, 0, s27
	s_sub_u32 s18, s18, s20
	s_subb_u32 s19, s19, s28
	s_or_b32 s28, s17, 4
	s_lshl_b64 s[18:19], s[18:19], 1
	s_or_b32 s18, s18, 1
	v_cmp_lt_u64_e64 s20, s[18:19], s[26:27]
	s_and_b32 s20, s20, exec_lo
	s_cselect_b32 s20, 0, s26
	s_cselect_b32 s17, s17, s28
	s_cselect_b32 s28, 0, s27
	s_sub_u32 s18, s18, s20
	s_subb_u32 s19, s19, s28
	s_or_b32 s28, s17, 2
	s_lshl_b64 s[18:19], s[18:19], 1
	s_or_b32 s18, s18, 1
	v_cmp_lt_u64_e64 s20, s[18:19], s[26:27]
	s_and_b32 s20, s20, exec_lo
	s_cselect_b32 s20, 0, s26
	s_cselect_b32 s17, s17, s28
	s_cselect_b32 s28, 0, s27
	s_sub_u32 s18, s18, s20
	s_subb_u32 s19, s19, s28
	s_or_b32 s28, s17, 1
	s_lshl_b64 s[18:19], s[18:19], 1
	s_or_b32 s18, s18, 1
	v_cmp_lt_u64_e64 s20, s[18:19], s[26:27]
	s_and_b32 s20, s20, exec_lo
	s_cselect_b32 s20, 0, s26
	s_cselect_b32 s17, s17, s28
	s_cselect_b32 s28, 0, s27
	s_sub_u32 s18, s18, s20
	s_subb_u32 s19, s19, s28
	s_or_b32 s28, s16, 0x80000000
	s_lshl_b64 s[18:19], s[18:19], 1
	v_mov_b32_e32 v9, s17
	s_or_b32 s18, s18, 1
	v_cmp_lt_u64_e64 s20, s[18:19], s[26:27]
	s_and_b32 s20, s20, exec_lo
	s_cselect_b32 s20, 0, s26
	s_cselect_b32 s16, s16, s28
	;; [unrolled: 1-line block ×3, first 2 shown]
	s_sub_u32 s18, s18, s20
	s_subb_u32 s19, s19, s28
	s_or_b32 s28, s16, 2.0
	s_lshl_b64 s[18:19], s[18:19], 1
	s_or_b32 s18, s18, 1
	v_cmp_lt_u64_e64 s20, s[18:19], s[26:27]
	s_and_b32 s20, s20, exec_lo
	s_cselect_b32 s20, 0, s26
	s_cselect_b32 s16, s16, s28
	s_cselect_b32 s28, 0, s27
	s_sub_u32 s18, s18, s20
	s_subb_u32 s19, s19, s28
	s_or_b32 s28, s16, 0x20000000
	s_lshl_b64 s[18:19], s[18:19], 1
	s_or_b32 s18, s18, 1
	v_cmp_lt_u64_e64 s20, s[18:19], s[26:27]
	s_and_b32 s20, s20, exec_lo
	s_cselect_b32 s20, 0, s26
	s_cselect_b32 s16, s16, s28
	s_cselect_b32 s28, 0, s27
	s_sub_u32 s18, s18, s20
	s_subb_u32 s19, s19, s28
	s_or_b32 s28, s16, 0x10000000
	;; [unrolled: 10-line block ×29, first 2 shown]
	s_lshl_b64 s[18:19], s[18:19], 1
	s_or_b32 s18, s18, 1
	v_cmp_lt_u64_e64 s20, s[18:19], s[26:27]
	s_and_b32 s20, s20, exec_lo
	s_cselect_b32 s20, 0, s26
	s_cselect_b32 s16, s16, s28
	;; [unrolled: 1-line block ×3, first 2 shown]
	s_sub_u32 s18, s18, s20
	s_subb_u32 s19, s19, s28
	s_lshl_b64 s[18:19], s[18:19], 1
	s_or_b32 s18, s18, 1
	v_cmp_ge_u64_e64 s18, s[18:19], s[26:27]
	v_cndmask_b32_e64 v8, 0, 1, s18
	v_or_b32_e32 v8, s16, v8
.LBB2_611:                              ;   in Loop: Header=BB2_499 Depth=2
	v_ashrrev_i32_e32 v10, 31, v2
	v_ashrrev_i32_e32 v11, 31, v60
	s_mov_b32 s20, exec_lo
	v_lshrrev_b32_e32 v10, 27, v10
	v_add_nc_u32_e32 v2, v2, v10
	v_add_nc_u32_sdwa v10, v60, v11 dst_sel:DWORD dst_unused:UNUSED_PAD src0_sel:DWORD src1_sel:BYTE_3
	v_ashrrev_i32_e32 v11, 5, v2
	v_and_b32_e32 v58, 0xffffff00, v10
	v_lshlrev_b32_e32 v2, 3, v57
	v_ashrrev_i32_e32 v10, 8, v10
	v_sub_nc_u32_e32 v59, v60, v58
	v_lshl_add_u32 v2, v11, 8, v2
	v_sub_nc_u32_e32 v10, v10, v11
	v_cmp_lt_i32_e64 s16, 7, v59
	v_sub_nc_u32_e32 v62, v60, v2
	v_add_co_ci_u32_e64 v61, null, 0, v10, s16
	v_cmpx_lt_i32_e32 7, v62
	s_cbranch_execz .LBB2_617
; %bb.612:                              ;   in Loop: Header=BB2_499 Depth=2
	s_trap 2
	ds_read_b64 v[80:81], v0
	v_add_nc_u32_e32 v2, v2, v85
	v_cmp_gt_i32_e64 s17, 0, v84
	s_mov_b32 s79, 0
	v_ashrrev_i32_e32 v82, 31, v2
	v_add_co_u32 v10, vcc_lo, v2, v66
	v_add_co_ci_u32_e64 v11, null, v82, v67, vcc_lo
	v_add_co_u32 v63, vcc_lo, v2, v68
	v_add_co_ci_u32_e64 v72, null, v82, v69, vcc_lo
	;; [unrolled: 2-line block ×3, first 2 shown]
	s_waitcnt lgkmcnt(0)
	v_add_co_u32 v80, vcc_lo, v80, v2
	v_add_co_ci_u32_e64 v81, null, v81, v82, vcc_lo
.LBB2_613:                              ;   Parent Loop BB2_47 Depth=1
                                        ;     Parent Loop BB2_499 Depth=2
                                        ; =>    This Loop Header: Depth=3
                                        ;         Child Loop BB2_614 Depth 4
	flat_load_dwordx2 v[82:83], v[10:11] slc
	flat_load_dwordx2 v[75:76], v[80:81] slc
	s_mov_b64 s[28:29], 0
	s_mov_b32 s88, -1
	s_waitcnt vmcnt(0) lgkmcnt(0)
	v_add_co_u32 v82, vcc_lo, v75, v82
	v_add_co_ci_u32_e64 v83, null, v76, v83, vcc_lo
	v_mov_b32_e32 v76, v3
	v_sub_co_u32 v2, s18, 0, v82
	v_cmp_gt_i64_e32 vcc_lo, 0, v[82:83]
	v_sub_co_ci_u32_e64 v75, null, 0, v83, s18
	s_and_b32 vcc_lo, s17, vcc_lo
	v_cndmask_b32_e32 v78, v82, v2, vcc_lo
	v_cndmask_b32_e32 v77, v83, v75, vcc_lo
	v_mul_hi_u32 v2, v78, v8
	v_mad_u64_u32 v[82:83], null, v77, v8, v[2:3]
	v_mov_b32_e32 v2, v82
	v_mov_b32_e32 v75, v83
	v_mad_u64_u32 v[82:83], null, v78, v9, v[2:3]
	v_mad_u64_u32 v[75:76], null, v77, v9, v[75:76]
	v_add_co_u32 v2, s18, v75, v83
	v_add_co_ci_u32_e64 v75, null, 0, v76, s18
	v_mul_lo_u32 v79, v2, s27
	v_mad_u64_u32 v[82:83], null, v2, s26, 0
	v_mul_lo_u32 v76, v75, s26
	v_sub_co_u32 v82, s18, v78, v82
	v_add3_u32 v83, v83, v79, v76
	v_sub_co_ci_u32_e64 v83, null, v77, v83, s18
	v_cmp_le_u64_e64 s18, s[26:27], v[82:83]
	v_cndmask_b32_e64 v82, 0, 1, s18
	v_add_co_u32 v2, s18, v2, v82
	v_add_co_ci_u32_e64 v82, null, 0, v75, s18
	v_sub_co_u32 v75, s18, 0, v2
	v_sub_co_ci_u32_e64 v83, null, 0, v82, s18
	v_cndmask_b32_e32 v83, v82, v83, vcc_lo
	v_cndmask_b32_e32 v82, v2, v75, vcc_lo
	.p2align	6
.LBB2_614:                              ;   Parent Loop BB2_47 Depth=1
                                        ;     Parent Loop BB2_499 Depth=2
                                        ;       Parent Loop BB2_613 Depth=3
                                        ; =>      This Inner Loop Header: Depth=4
	s_cmp_eq_u32 s28, 1
	s_cselect_b32 vcc_lo, -1, 0
	s_cmp_eq_u32 s28, 0
	v_cndmask_b32_e32 v75, v63, v73, vcc_lo
	v_cndmask_b32_e32 v76, v72, v74, vcc_lo
	s_mov_b64 s[28:29], 1
	v_add_co_u32 v2, s18, 0x100, v75
	v_add_co_ci_u32_e64 v77, null, 0, v76, s18
	s_cselect_b32 s18, -1, 0
	v_cndmask_b32_e32 v73, v73, v2, vcc_lo
	v_cndmask_b32_e64 v63, v63, v2, s18
	v_cndmask_b32_e32 v74, v74, v77, vcc_lo
	v_cndmask_b32_e64 v72, v72, v77, s18
	s_and_b32 s19, exec_lo, s88
	s_mov_b32 s88, 0
	s_mov_b32 vcc_lo, s19
	flat_store_dwordx2 v[75:76], v[82:83] glc slc
	s_cbranch_vccnz .LBB2_614
; %bb.615:                              ;   in Loop: Header=BB2_613 Depth=3
	v_add_co_u32 v10, vcc_lo, v10, v44
	v_sub_nc_u32_e32 v62, v62, v114
	v_add_co_ci_u32_e64 v11, null, v11, v45, vcc_lo
	v_add_co_u32 v80, vcc_lo, v80, v44
	v_add_co_ci_u32_e64 v81, null, v81, v45, vcc_lo
	v_add_co_u32 v63, vcc_lo, v63, v117
	v_add_co_ci_u32_e64 v72, null, v72, v40, vcc_lo
	v_cmp_gt_i32_e32 vcc_lo, 8, v62
	v_add_co_u32 v73, s18, v73, v117
	v_add_co_ci_u32_e64 v74, null, v74, v40, s18
	v_sub_nc_u32_e32 v61, v61, v97
	s_or_b32 s79, vcc_lo, s79
	s_andn2_b32 exec_lo, exec_lo, s79
	s_cbranch_execnz .LBB2_613
; %bb.616:                              ;   in Loop: Header=BB2_499 Depth=2
	s_or_b32 exec_lo, exec_lo, s79
.LBB2_617:                              ;   in Loop: Header=BB2_499 Depth=2
	s_or_b32 exec_lo, exec_lo, s20
	v_and_b32_e32 v2, 7, v60
	v_cndmask_b32_e64 v10, v59, v2, s16
	v_cmp_ne_u32_e32 vcc_lo, 0, v10
	s_and_b32 exec_lo, exec_lo, vcc_lo
	s_cbranch_execz .LBB2_628
; %bb.618:                              ;   in Loop: Header=BB2_499 Depth=2
	v_mov_b32_e32 v8, -1
	v_mov_b32_e32 v9, -1
	s_cmp_lt_i32 s22, 1
	s_cbranch_scc1 .LBB2_623
; %bb.619:                              ;   in Loop: Header=BB2_499 Depth=2
	s_cmp_lg_u32 s22, 1
	s_cbranch_scc1 .LBB2_621
; %bb.620:                              ;   in Loop: Header=BB2_499 Depth=2
	s_mov_b32 s20, s23
	s_mov_b64 s[28:29], 1
	s_mov_b64 s[18:19], s[20:21]
	s_branch .LBB2_622
.LBB2_621:                              ;   in Loop: Header=BB2_499 Depth=2
	s_mov_b64 s[28:29], 3
	s_mov_b64 s[18:19], 0
.LBB2_622:                              ;   in Loop: Header=BB2_499 Depth=2
	v_cmp_lt_u64_e64 s17, s[28:29], s[26:27]
	s_or_b32 s20, s19, 2.0
	s_and_b32 s17, s17, exec_lo
	s_cselect_b32 s17, 0, s26
	s_cselect_b32 s19, s19, s20
	s_sub_i32 s17, s28, s17
	s_or_b32 s20, s19, 0x20000000
	s_lshl_b32 s17, s17, 1
	s_or_b32 s22, s17, 1
	v_cmp_lt_u64_e64 s17, s[22:23], s[26:27]
	s_and_b32 s17, s17, exec_lo
	s_cselect_b32 s17, s19, s20
	s_cselect_b32 s19, 0, s26
	s_cselect_b32 s20, 0, s27
	s_sub_u32 s28, s22, s19
	s_subb_u32 s29, 0, s20
	s_or_b32 s20, s17, 0x10000000
	s_lshl_b64 s[28:29], s[28:29], 1
	s_or_b32 s28, s28, 1
	v_cmp_lt_u64_e64 s19, s[28:29], s[26:27]
	s_and_b32 s19, s19, exec_lo
	s_cselect_b32 s19, 0, s26
	s_cselect_b32 s17, s17, s20
	s_cselect_b32 s20, 0, s27
	s_sub_u32 s28, s28, s19
	s_subb_u32 s29, s29, s20
	s_or_b32 s20, s17, 0x8000000
	s_lshl_b64 s[28:29], s[28:29], 1
	;; [unrolled: 10-line block ×30, first 2 shown]
	v_mov_b32_e32 v9, s17
	s_or_b32 s28, s28, 1
	v_cmp_lt_u64_e64 s19, s[28:29], s[26:27]
	s_and_b32 s19, s19, exec_lo
	s_cselect_b32 s20, s18, s20
	s_cselect_b32 s18, 0, s26
	;; [unrolled: 1-line block ×3, first 2 shown]
	s_sub_u32 s18, s28, s18
	s_subb_u32 s19, s29, s19
	s_or_b32 s28, s20, 2.0
	s_lshl_b64 s[18:19], s[18:19], 1
	s_or_b32 s18, s18, 1
	v_cmp_lt_u64_e64 s22, s[18:19], s[26:27]
	s_and_b32 s22, s22, exec_lo
	s_cselect_b32 s22, 0, s26
	s_cselect_b32 s20, s20, s28
	s_cselect_b32 s28, 0, s27
	s_sub_u32 s18, s18, s22
	s_subb_u32 s19, s19, s28
	s_or_b32 s28, s20, 0x20000000
	s_lshl_b64 s[18:19], s[18:19], 1
	s_or_b32 s18, s18, 1
	v_cmp_lt_u64_e64 s22, s[18:19], s[26:27]
	s_and_b32 s22, s22, exec_lo
	s_cselect_b32 s22, 0, s26
	s_cselect_b32 s20, s20, s28
	s_cselect_b32 s28, 0, s27
	s_sub_u32 s18, s18, s22
	s_subb_u32 s19, s19, s28
	s_or_b32 s28, s20, 0x10000000
	;; [unrolled: 10-line block ×29, first 2 shown]
	s_lshl_b64 s[18:19], s[18:19], 1
	s_or_b32 s18, s18, 1
	v_cmp_lt_u64_e64 s22, s[18:19], s[26:27]
	s_and_b32 s22, s22, exec_lo
	s_cselect_b32 s22, 0, s26
	s_cselect_b32 s20, s20, s28
	;; [unrolled: 1-line block ×3, first 2 shown]
	s_sub_u32 s18, s18, s22
	s_subb_u32 s19, s19, s28
	s_lshl_b64 s[18:19], s[18:19], 1
	s_or_b32 s18, s18, 1
	v_cmp_ge_u64_e64 s18, s[18:19], s[26:27]
	v_cndmask_b32_e64 v8, 0, 1, s18
	v_or_b32_e32 v8, s20, v8
.LBB2_623:                              ;   in Loop: Header=BB2_499 Depth=2
	v_cmp_lt_i32_e32 vcc_lo, 0, v61
	v_cndmask_b32_e32 v11, 0, v97, vcc_lo
	v_sub_nc_u32_e32 v11, v11, v61
	v_lshl_add_u32 v11, v11, 5, v57
	v_ashrrev_i32_e32 v80, 31, v11
	v_lshrrev_b32_e32 v80, 27, v80
	v_add_nc_u32_e32 v80, v11, v80
	v_and_b32_e32 v81, 0x1fffffe0, v80
	v_lshlrev_b32_e32 v80, 3, v80
	v_sub_nc_u32_e32 v11, v11, v81
	v_and_b32_e32 v80, 0xffffff00, v80
	v_lshl_add_u32 v11, v11, 3, v80
	v_sub_nc_u32_e32 v57, v10, v11
	v_cmp_lt_i32_e32 vcc_lo, 7, v57
	s_and_b32 exec_lo, exec_lo, vcc_lo
	s_cbranch_execz .LBB2_628
; %bb.624:                              ;   in Loop: Header=BB2_499 Depth=2
	v_sub_nc_u32_e32 v2, v59, v2
	s_trap 2
	ds_read_b64 v[80:81], v0
	v_add_nc_u32_e32 v10, v58, v85
	s_mov_b32 s19, 0
	v_cndmask_b32_e64 v2, 0, v2, s16
	v_cmp_gt_i32_e64 s16, 0, v84
	v_add3_u32 v2, v10, v2, v11
	v_ashrrev_i32_e32 v82, 31, v2
	v_add_co_u32 v10, vcc_lo, v2, v66
	v_add_co_ci_u32_e64 v11, null, v82, v67, vcc_lo
	s_waitcnt lgkmcnt(0)
	v_add_co_u32 v80, vcc_lo, v80, v2
	v_add_co_ci_u32_e64 v81, null, v81, v82, vcc_lo
	v_add_co_u32 v85, vcc_lo, v2, v68
	v_add_co_ci_u32_e64 v58, null, v82, v69, vcc_lo
	v_add_co_u32 v59, vcc_lo, v2, v70
	v_add_co_ci_u32_e64 v71, null, v82, v71, vcc_lo
.LBB2_625:                              ;   Parent Loop BB2_47 Depth=1
                                        ;     Parent Loop BB2_499 Depth=2
                                        ; =>    This Loop Header: Depth=3
                                        ;         Child Loop BB2_626 Depth 4
	flat_load_dwordx2 v[82:83], v[10:11] slc
	flat_load_dwordx2 v[60:61], v[80:81] slc
	s_mov_b64 s[28:29], 0
	s_mov_b32 s20, -1
	s_waitcnt vmcnt(0) lgkmcnt(0)
	v_add_co_u32 v82, vcc_lo, v60, v82
	v_add_co_ci_u32_e64 v83, null, v61, v83, vcc_lo
	v_sub_co_u32 v2, s17, 0, v82
	v_cmp_gt_i64_e32 vcc_lo, 0, v[82:83]
	v_sub_co_ci_u32_e64 v84, null, 0, v83, s17
	s_and_b32 vcc_lo, s16, vcc_lo
	v_cndmask_b32_e32 v63, v82, v2, vcc_lo
	v_cndmask_b32_e32 v62, v83, v84, vcc_lo
	v_mov_b32_e32 v84, v3
	v_mul_hi_u32 v2, v63, v8
	v_mad_u64_u32 v[82:83], null, v62, v8, v[2:3]
	v_mov_b32_e32 v2, v82
	v_mad_u64_u32 v[82:83], null, v62, v9, v[83:84]
	v_mad_u64_u32 v[60:61], null, v63, v9, v[2:3]
	v_add_co_u32 v2, s17, v82, v61
	v_add_co_ci_u32_e64 v84, null, 0, v83, s17
	v_mul_lo_u32 v61, v2, s27
	v_mad_u64_u32 v[82:83], null, v2, s26, 0
	v_mul_lo_u32 v60, v84, s26
	v_sub_co_u32 v82, s17, v63, v82
	v_add3_u32 v83, v83, v61, v60
	v_sub_co_ci_u32_e64 v83, null, v62, v83, s17
	v_cmp_le_u64_e64 s17, s[26:27], v[82:83]
	v_cndmask_b32_e64 v82, 0, 1, s17
	v_add_co_u32 v2, s17, v2, v82
	v_add_co_ci_u32_e64 v82, null, 0, v84, s17
	v_sub_co_u32 v84, s17, 0, v2
	v_sub_co_ci_u32_e64 v83, null, 0, v82, s17
	v_cndmask_b32_e32 v83, v82, v83, vcc_lo
	v_cndmask_b32_e32 v82, v2, v84, vcc_lo
	.p2align	6
.LBB2_626:                              ;   Parent Loop BB2_47 Depth=1
                                        ;     Parent Loop BB2_499 Depth=2
                                        ;       Parent Loop BB2_625 Depth=3
                                        ; =>      This Inner Loop Header: Depth=4
	s_cmp_eq_u32 s28, 1
	s_cselect_b32 vcc_lo, -1, 0
	s_cmp_eq_u32 s28, 0
	v_cndmask_b32_e32 v60, v85, v59, vcc_lo
	v_cndmask_b32_e32 v61, v58, v71, vcc_lo
	s_mov_b64 s[28:29], 1
	v_add_co_u32 v2, s17, 0x100, v60
	v_add_co_ci_u32_e64 v84, null, 0, v61, s17
	s_cselect_b32 s17, -1, 0
	v_cndmask_b32_e32 v59, v59, v2, vcc_lo
	v_cndmask_b32_e64 v85, v85, v2, s17
	v_cndmask_b32_e32 v71, v71, v84, vcc_lo
	v_cndmask_b32_e64 v58, v58, v84, s17
	s_and_b32 s18, exec_lo, s20
	s_mov_b32 s20, 0
	s_mov_b32 vcc_lo, s18
	flat_store_dwordx2 v[60:61], v[82:83] glc slc
	s_cbranch_vccnz .LBB2_626
; %bb.627:                              ;   in Loop: Header=BB2_625 Depth=3
	v_add_co_u32 v10, vcc_lo, v10, v46
	v_sub_nc_u32_e32 v57, v57, v115
	v_add_co_ci_u32_e64 v11, null, v11, v47, vcc_lo
	v_add_co_u32 v80, vcc_lo, v80, v46
	v_add_co_ci_u32_e64 v81, null, v81, v47, vcc_lo
	v_add_co_u32 v85, vcc_lo, v85, v118
	v_add_co_ci_u32_e64 v58, null, v58, v41, vcc_lo
	v_cmp_gt_i32_e32 vcc_lo, 8, v57
	v_add_co_u32 v59, s17, v59, v118
	v_add_co_ci_u32_e64 v71, null, v71, v41, s17
	s_or_b32 s19, vcc_lo, s19
	s_andn2_b32 exec_lo, exec_lo, s19
	s_cbranch_execnz .LBB2_625
.LBB2_628:                              ;   in Loop: Header=BB2_499 Depth=2
	s_or_b32 exec_lo, exec_lo, s78
	s_mov_b32 s16, 0
.LBB2_629:                              ;   in Loop: Header=BB2_499 Depth=2
	s_and_b32 vcc_lo, exec_lo, s16
	s_cbranch_vccz .LBB2_639
; %bb.630:                              ;   in Loop: Header=BB2_499 Depth=2
	s_mov_b32 s16, -1
	s_and_saveexec_b32 s17, s14
	s_cbranch_execz .LBB2_632
; %bb.631:                              ;   in Loop: Header=BB2_499 Depth=2
	ds_read_b32 v2, v0 offset:720
	s_waitcnt lgkmcnt(0)
	v_and_b32_e32 v2, 15, v2
	v_cmp_eq_u32_e32 vcc_lo, 0, v2
	s_orn2_b32 s16, vcc_lo, exec_lo
.LBB2_632:                              ;   in Loop: Header=BB2_499 Depth=2
	s_or_b32 exec_lo, exec_lo, s17
	s_and_saveexec_b32 s17, s12
	s_cbranch_execz .LBB2_634
; %bb.633:                              ;   in Loop: Header=BB2_499 Depth=2
	ds_read_b32 v2, v0 offset:784
	s_waitcnt lgkmcnt(0)
	v_and_b32_e32 v2, 15, v2
	v_cmp_eq_u32_e32 vcc_lo, 0, v2
	s_and_b32 s18, s16, vcc_lo
	s_andn2_b32 s16, s16, exec_lo
	s_and_b32 s18, s18, exec_lo
	s_or_b32 s16, s16, s18
.LBB2_634:                              ;   in Loop: Header=BB2_499 Depth=2
	s_or_b32 exec_lo, exec_lo, s17
	s_xor_b32 s16, s16, -1
	v_alignbit_b32 v82, v70, v70, 1
	v_cndmask_b32_e64 v2, 0, 1, s16
	s_mov_b32 s16, -1
	v_cmp_ne_u32_e32 vcc_lo, 0, v2
	s_cbranch_vccz .LBB2_640
; %bb.635:                              ;   in Loop: Header=BB2_499 Depth=2
	v_readfirstlane_b32 s16, v82
	s_mov_b32 s28, -1
	s_and_b32 s22, s16, 0x7fffffff
	s_mov_b64 s[26:27], s[22:23]
	v_mov_b32_e32 v83, 0
	s_cbranch_execnz .LBB2_641
.LBB2_636:                              ;   in Loop: Header=BB2_499 Depth=2
	v_readfirstlane_b32 s26, v82
	v_mov_b32_e32 v8, -1
	v_mov_b32_e32 v9, -1
	s_and_b32 s22, s26, 0x7fffffff
	s_cmp_lt_i32 s22, 1
	s_cbranch_scc1 .LBB2_644
; %bb.637:                              ;   in Loop: Header=BB2_499 Depth=2
	s_cmp_lg_u32 s22, 1
	s_cbranch_scc1 .LBB2_642
; %bb.638:                              ;   in Loop: Header=BB2_499 Depth=2
	s_mov_b32 s20, s23
	s_mov_b64 s[18:19], 1
	s_mov_b64 s[16:17], s[20:21]
	s_branch .LBB2_643
.LBB2_639:                              ;   in Loop: Header=BB2_499 Depth=2
	v_cmp_lt_i32_e64 s16, 0, v53
	s_and_saveexec_b32 s17, s6
	s_cbranch_execnz .LBB2_681
	s_branch .LBB2_576
.LBB2_640:                              ;   in Loop: Header=BB2_499 Depth=2
	s_mov_b32 s28, 0
                                        ; implicit-def: $sgpr26_sgpr27
	v_mov_b32_e32 v83, 0
	s_andn2_b32 vcc_lo, exec_lo, s16
	s_cbranch_vccz .LBB2_636
.LBB2_641:                              ;   in Loop: Header=BB2_499 Depth=2
	v_mov_b32_e32 v2, v0
	v_mov_b32_e32 v84, v98
	s_and_saveexec_b32 s29, s28
	s_cbranch_execnz .LBB2_662
	s_branch .LBB2_680
.LBB2_642:                              ;   in Loop: Header=BB2_499 Depth=2
	s_mov_b64 s[18:19], 3
	s_mov_b64 s[16:17], 0
.LBB2_643:                              ;   in Loop: Header=BB2_499 Depth=2
	v_cmp_lt_u64_e64 s19, s[18:19], s[22:23]
	s_or_b32 s20, s17, 2.0
	s_and_b32 s19, s19, exec_lo
	s_cselect_b32 s19, 0, s22
	s_cselect_b32 s17, s17, s20
	s_sub_i32 s18, s18, s19
	s_mov_b32 s19, s23
	s_lshl_b32 s18, s18, 1
	s_or_b32 s20, s17, 0x20000000
	s_or_b32 s18, s18, 1
	v_cmp_lt_u64_e64 s19, s[18:19], s[22:23]
	s_and_b32 s19, s19, exec_lo
	s_cselect_b32 s19, 0, s22
	s_cselect_b32 s17, s17, s20
	s_cselect_b32 s20, 0, 0
	s_sub_u32 s18, s18, s19
	s_subb_u32 s19, 0, s20
	s_or_b32 s27, s17, 0x10000000
	s_lshl_b64 s[18:19], s[18:19], 1
	s_or_b32 s18, s18, 1
	v_cmp_lt_u64_e64 s20, s[18:19], s[22:23]
	s_and_b32 s20, s20, exec_lo
	s_cselect_b32 s20, 0, s22
	s_cselect_b32 s17, s17, s27
	s_cselect_b32 s27, 0, 0
	s_sub_u32 s18, s18, s20
	s_subb_u32 s19, s19, s27
	s_or_b32 s27, s17, 0x8000000
	s_lshl_b64 s[18:19], s[18:19], 1
	;; [unrolled: 10-line block ×30, first 2 shown]
	v_mov_b32_e32 v9, s17
	s_or_b32 s18, s18, 1
	v_cmp_lt_u64_e64 s20, s[18:19], s[22:23]
	s_and_b32 s20, s20, exec_lo
	s_cselect_b32 s20, 0, s22
	s_cselect_b32 s16, s16, s27
	;; [unrolled: 1-line block ×3, first 2 shown]
	s_sub_u32 s18, s18, s20
	s_subb_u32 s19, s19, s27
	s_or_b32 s27, s16, 2.0
	s_lshl_b64 s[18:19], s[18:19], 1
	s_or_b32 s18, s18, 1
	v_cmp_lt_u64_e64 s20, s[18:19], s[22:23]
	s_and_b32 s20, s20, exec_lo
	s_cselect_b32 s20, 0, s22
	s_cselect_b32 s16, s16, s27
	s_cselect_b32 s27, 0, 0
	s_sub_u32 s18, s18, s20
	s_subb_u32 s19, s19, s27
	s_or_b32 s27, s16, 0x20000000
	s_lshl_b64 s[18:19], s[18:19], 1
	s_or_b32 s18, s18, 1
	v_cmp_lt_u64_e64 s20, s[18:19], s[22:23]
	s_and_b32 s20, s20, exec_lo
	s_cselect_b32 s20, 0, s22
	s_cselect_b32 s16, s16, s27
	s_cselect_b32 s27, 0, 0
	s_sub_u32 s18, s18, s20
	s_subb_u32 s19, s19, s27
	s_or_b32 s27, s16, 0x10000000
	;; [unrolled: 10-line block ×29, first 2 shown]
	s_lshl_b64 s[18:19], s[18:19], 1
	s_or_b32 s18, s18, 1
	v_cmp_lt_u64_e64 s20, s[18:19], s[22:23]
	s_and_b32 s20, s20, exec_lo
	s_cselect_b32 s20, 0, s22
	s_cselect_b32 s16, s16, s27
	;; [unrolled: 1-line block ×3, first 2 shown]
	s_sub_u32 s18, s18, s20
	s_subb_u32 s19, s19, s27
	s_lshl_b64 s[18:19], s[18:19], 1
	s_or_b32 s18, s18, 1
	v_cmp_ge_u64_e64 s18, s[18:19], s[22:23]
	v_cndmask_b32_e64 v2, 0, 1, s18
	v_or_b32_e32 v8, s16, v2
.LBB2_644:                              ;   in Loop: Header=BB2_499 Depth=2
	v_ashrrev_i32_e32 v2, 31, v55
	v_sub_nc_u32_e32 v83, v55, v100
	s_mov_b32 s27, exec_lo
	v_lshrrev_b32_e32 v2, 23, v2
	v_add_nc_u32_e32 v2, v55, v2
	v_and_b32_e32 v82, 0xfffffe00, v2
	v_ashrrev_i32_e32 v2, 9, v2
	v_sub_nc_u32_e32 v57, v55, v82
	v_sub_nc_u32_e32 v2, v2, v99
	v_cmp_lt_i32_e32 vcc_lo, 15, v57
	v_add_co_ci_u32_e64 v58, null, 0, v2, vcc_lo
	v_cmpx_lt_i32_e32 15, v83
	s_cbranch_execz .LBB2_648
; %bb.645:                              ;   in Loop: Header=BB2_499 Depth=2
	s_trap 2
	ds_read_b64 v[70:71], v0
	v_add_co_u32 v10, s16, v66, v100
	v_add_co_ci_u32_e64 v11, null, 0, v67, s16
	s_cmp_lt_i32 s26, 0
	s_mov_b32 s29, 0
	s_cselect_b32 s78, -1, 0
	s_waitcnt lgkmcnt(0)
	v_add_co_u32 v70, s16, v70, v100
	v_add_co_ci_u32_e64 v71, null, 0, v71, s16
	v_add_co_u32 v80, s16, v68, v100
	v_add_co_ci_u32_e64 v81, null, 0, v69, s16
.LBB2_646:                              ;   Parent Loop BB2_47 Depth=1
                                        ;     Parent Loop BB2_499 Depth=2
                                        ; =>    This Inner Loop Header: Depth=3
	global_load_dwordx4 v[59:62], v[10:11], off slc
	global_load_dwordx4 v[72:75], v[70:71], off slc
	v_mov_b32_e32 v85, v3
	v_mov_b32_e32 v63, v3
	v_sub_nc_u32_e32 v83, v83, v113
	v_add_co_u32 v10, s16, v10, v113
	v_add_co_ci_u32_e64 v11, null, 0, v11, s16
	v_add_co_u32 v70, s16, v70, v113
	v_add_co_ci_u32_e64 v71, null, 0, v71, s16
	v_cmp_gt_i32_e64 s16, 16, v83
	v_sub_nc_u32_e32 v58, v58, v97
	s_waitcnt vmcnt(0)
	v_add_co_u32 v59, s17, v72, v59
	v_add_co_ci_u32_e64 v60, null, v73, v60, s17
	v_add_co_u32 v61, s17, v74, v61
	v_add_co_ci_u32_e64 v62, null, v75, v62, s17
	v_cmp_gt_i64_e64 s17, 0, v[59:60]
	v_sub_co_u32 v2, s18, 0, v59
	v_sub_co_ci_u32_e64 v84, null, 0, v60, s18
	v_cmp_gt_i64_e64 s18, 0, v[61:62]
	s_and_b32 s17, s78, s17
	v_sub_co_u32 v72, s19, 0, v61
	v_cndmask_b32_e64 v76, v59, v2, s17
	v_cndmask_b32_e64 v74, v60, v84, s17
	s_and_b32 s18, s78, s18
	v_sub_co_ci_u32_e64 v73, null, 0, v62, s19
	v_mul_hi_u32 v2, v76, v8
	v_cndmask_b32_e64 v77, v61, v72, s18
	s_or_b32 s29, s16, s29
	v_cndmask_b32_e64 v75, v62, v73, s18
	v_mad_u64_u32 v[59:60], null, v74, v8, v[2:3]
	v_mov_b32_e32 v2, v59
	v_mov_b32_e32 v84, v60
	v_mad_u64_u32 v[59:60], null, v76, v9, v[2:3]
	v_mad_u64_u32 v[84:85], null, v74, v9, v[84:85]
	v_mul_hi_u32 v2, v77, v8
	v_add_co_u32 v78, s19, v84, v60
	v_mad_u64_u32 v[59:60], null, v75, v8, v[2:3]
	v_add_co_ci_u32_e64 v79, null, 0, v85, s19
	v_mad_u64_u32 v[84:85], null, v78, s22, 0
	v_mov_b32_e32 v2, v59
	v_mov_b32_e32 v62, v60
	v_mad_u64_u32 v[72:73], null, v79, s22, v[85:86]
	v_mad_u64_u32 v[59:60], null, v77, v9, v[2:3]
	;; [unrolled: 1-line block ×3, first 2 shown]
	v_sub_co_u32 v84, s19, v76, v84
	v_sub_co_ci_u32_e64 v85, null, v74, v72, s19
	v_add_co_u32 v63, s20, v61, v60
	v_cmp_le_u64_e64 s19, s[22:23], v[84:85]
	v_add_co_ci_u32_e64 v73, null, 0, v62, s20
	v_mad_u64_u32 v[59:60], null, v63, s22, 0
	v_cndmask_b32_e64 v84, 0, 1, s19
	v_mov_b32_e32 v2, v60
	v_add_co_u32 v62, s19, v78, v84
	v_add_co_ci_u32_e64 v60, null, 0, v79, s19
	v_mad_u64_u32 v[84:85], null, v73, s22, v[2:3]
	v_sub_co_u32 v2, s20, 0, v62
	v_sub_co_u32 v61, s19, v77, v59
	v_sub_co_ci_u32_e64 v85, null, 0, v60, s20
	v_cndmask_b32_e64 v59, v62, v2, s17
	v_sub_co_ci_u32_e64 v62, null, v75, v84, s19
	v_cndmask_b32_e64 v60, v60, v85, s17
	v_cmp_le_u64_e64 s17, s[22:23], v[61:62]
	v_cndmask_b32_e64 v2, 0, 1, s17
	v_add_co_u32 v2, s17, v63, v2
	v_add_co_ci_u32_e64 v84, null, 0, v73, s17
	v_sub_co_u32 v85, s17, 0, v2
	v_sub_co_ci_u32_e64 v61, null, 0, v84, s17
	v_cndmask_b32_e64 v62, v84, v61, s18
	v_cndmask_b32_e64 v61, v2, v85, s18
	global_store_dwordx4 v[80:81], v[59:62], off glc slc
	v_add_co_u32 v80, s17, v80, v113
	v_add_co_ci_u32_e64 v81, null, 0, v81, s17
	s_andn2_b32 exec_lo, exec_lo, s29
	s_cbranch_execnz .LBB2_646
; %bb.647:                              ;   in Loop: Header=BB2_499 Depth=2
	s_or_b32 exec_lo, exec_lo, s29
.LBB2_648:                              ;   in Loop: Header=BB2_499 Depth=2
	s_or_b32 exec_lo, exec_lo, s27
	v_and_b32_e32 v10, 8, v55
	s_mov_b32 s27, exec_lo
                                        ; implicit-def: $vgpr55
                                        ; implicit-def: $vgpr83
                                        ; implicit-def: $vgpr2
                                        ; implicit-def: $vgpr84
	v_cndmask_b32_e32 v85, v57, v10, vcc_lo
	v_cmpx_ne_u32_e32 0, v85
	s_cbranch_execz .LBB2_661
; %bb.649:                              ;   in Loop: Header=BB2_499 Depth=2
	v_mov_b32_e32 v8, -1
	v_mov_b32_e32 v9, -1
	s_cmp_lt_i32 s22, 1
	s_cbranch_scc1 .LBB2_654
; %bb.650:                              ;   in Loop: Header=BB2_499 Depth=2
	s_cmp_lg_u32 s22, 1
	s_cbranch_scc1 .LBB2_652
; %bb.651:                              ;   in Loop: Header=BB2_499 Depth=2
	s_mov_b32 s20, s23
	s_mov_b64 s[18:19], 1
	s_mov_b64 s[16:17], s[20:21]
	s_branch .LBB2_653
.LBB2_652:                              ;   in Loop: Header=BB2_499 Depth=2
	s_mov_b64 s[18:19], 3
	s_mov_b64 s[16:17], 0
.LBB2_653:                              ;   in Loop: Header=BB2_499 Depth=2
	v_cmp_lt_u64_e64 s19, s[18:19], s[22:23]
	s_or_b32 s20, s17, 2.0
	s_and_b32 s19, s19, exec_lo
	s_cselect_b32 s19, 0, s22
	s_cselect_b32 s17, s17, s20
	s_sub_i32 s18, s18, s19
	s_mov_b32 s19, s23
	s_lshl_b32 s18, s18, 1
	s_or_b32 s20, s17, 0x20000000
	s_or_b32 s18, s18, 1
	v_cmp_lt_u64_e64 s19, s[18:19], s[22:23]
	s_and_b32 s19, s19, exec_lo
	s_cselect_b32 s19, 0, s22
	s_cselect_b32 s17, s17, s20
	s_cselect_b32 s20, 0, 0
	s_sub_u32 s18, s18, s19
	s_subb_u32 s19, 0, s20
	s_or_b32 s29, s17, 0x10000000
	s_lshl_b64 s[18:19], s[18:19], 1
	s_or_b32 s18, s18, 1
	v_cmp_lt_u64_e64 s20, s[18:19], s[22:23]
	s_and_b32 s20, s20, exec_lo
	s_cselect_b32 s20, 0, s22
	s_cselect_b32 s17, s17, s29
	s_cselect_b32 s29, 0, 0
	s_sub_u32 s18, s18, s20
	s_subb_u32 s19, s19, s29
	s_or_b32 s29, s17, 0x8000000
	s_lshl_b64 s[18:19], s[18:19], 1
	;; [unrolled: 10-line block ×30, first 2 shown]
	v_mov_b32_e32 v9, s17
	s_or_b32 s18, s18, 1
	v_cmp_lt_u64_e64 s20, s[18:19], s[22:23]
	s_and_b32 s20, s20, exec_lo
	s_cselect_b32 s20, 0, s22
	s_cselect_b32 s16, s16, s29
	;; [unrolled: 1-line block ×3, first 2 shown]
	s_sub_u32 s18, s18, s20
	s_subb_u32 s19, s19, s29
	s_or_b32 s29, s16, 2.0
	s_lshl_b64 s[18:19], s[18:19], 1
	s_or_b32 s18, s18, 1
	v_cmp_lt_u64_e64 s20, s[18:19], s[22:23]
	s_and_b32 s20, s20, exec_lo
	s_cselect_b32 s20, 0, s22
	s_cselect_b32 s16, s16, s29
	s_cselect_b32 s29, 0, 0
	s_sub_u32 s18, s18, s20
	s_subb_u32 s19, s19, s29
	s_or_b32 s29, s16, 0x20000000
	s_lshl_b64 s[18:19], s[18:19], 1
	s_or_b32 s18, s18, 1
	v_cmp_lt_u64_e64 s20, s[18:19], s[22:23]
	s_and_b32 s20, s20, exec_lo
	s_cselect_b32 s20, 0, s22
	s_cselect_b32 s16, s16, s29
	s_cselect_b32 s29, 0, 0
	s_sub_u32 s18, s18, s20
	s_subb_u32 s19, s19, s29
	s_or_b32 s29, s16, 0x10000000
	;; [unrolled: 10-line block ×29, first 2 shown]
	s_lshl_b64 s[18:19], s[18:19], 1
	s_or_b32 s18, s18, 1
	v_cmp_lt_u64_e64 s20, s[18:19], s[22:23]
	s_and_b32 s20, s20, exec_lo
	s_cselect_b32 s20, 0, s22
	s_cselect_b32 s16, s16, s29
	;; [unrolled: 1-line block ×3, first 2 shown]
	s_sub_u32 s18, s18, s20
	s_subb_u32 s19, s19, s29
	s_lshl_b64 s[18:19], s[18:19], 1
	s_or_b32 s18, s18, 1
	v_cmp_ge_u64_e64 s18, s[18:19], s[22:23]
	v_cndmask_b32_e64 v2, 0, 1, s18
	v_or_b32_e32 v8, s16, v2
.LBB2_654:                              ;   in Loop: Header=BB2_499 Depth=2
	v_cmp_lt_i32_e64 s16, 0, v58
	v_ashrrev_i32_e32 v55, 31, v85
	v_sub_nc_u32_e32 v10, v57, v10
	s_mov_b32 s29, exec_lo
	v_cndmask_b32_e64 v2, 0, v97, s16
	v_lshrrev_b32_e32 v55, 23, v55
	v_cndmask_b32_e32 v10, 0, v10, vcc_lo
	v_sub_nc_u32_e32 v2, v2, v58
	v_add_nc_u32_e32 v55, v85, v55
	v_add_nc_u32_e32 v82, v10, v82
	v_lshl_or_b32 v2, v2, 5, v98
	v_and_b32_e32 v58, 0xfffffe00, v55
	v_ashrrev_i32_e32 v55, 9, v55
	v_ashrrev_i32_e32 v11, 31, v2
	v_sub_nc_u32_e32 v57, v85, v58
	v_lshrrev_b32_e32 v11, 27, v11
	v_cmp_lt_i32_e32 vcc_lo, 15, v57
	v_add_nc_u32_e32 v11, v2, v11
	v_and_b32_e32 v70, 0xffffffe0, v11
	v_ashrrev_i32_e32 v11, 5, v11
	v_sub_nc_u32_e32 v59, v2, v70
	v_add_co_ci_u32_e64 v70, null, 0, v55, vcc_lo
	v_lshlrev_b32_e32 v2, 4, v59
	v_sub_nc_u32_e32 v60, v70, v11
	v_lshl_add_u32 v2, v11, 9, v2
	v_sub_nc_u32_e32 v55, v85, v2
	v_cmpx_lt_i32_e32 15, v55
	s_cbranch_execz .LBB2_658
; %bb.655:                              ;   in Loop: Header=BB2_499 Depth=2
	s_trap 2
	ds_read_b64 v[70:71], v0
	v_add_nc_u32_e32 v2, v2, v82
	s_cmp_lt_i32 s26, 0
	s_mov_b32 s78, 0
	s_cselect_b32 s79, -1, 0
	v_ashrrev_i32_e32 v81, 31, v2
	v_add_co_u32 v10, s16, v2, v66
	v_add_co_ci_u32_e64 v11, null, v81, v67, s16
	s_waitcnt lgkmcnt(0)
	v_add_co_u32 v70, s16, v70, v2
	v_add_co_ci_u32_e64 v71, null, v71, v81, s16
	v_add_co_u32 v80, s16, v2, v68
	v_add_co_ci_u32_e64 v81, null, v81, v69, s16
.LBB2_656:                              ;   Parent Loop BB2_47 Depth=1
                                        ;     Parent Loop BB2_499 Depth=2
                                        ; =>    This Inner Loop Header: Depth=3
	global_load_dwordx4 v[72:75], v[10:11], off slc
	global_load_dwordx4 v[76:79], v[70:71], off slc
	v_mov_b32_e32 v84, v3
	v_mov_b32_e32 v62, v3
	v_sub_nc_u32_e32 v55, v55, v113
	v_add_co_u32 v10, s16, v10, v113
	v_add_co_ci_u32_e64 v11, null, 0, v11, s16
	v_add_co_u32 v70, s16, v70, v113
	v_add_co_ci_u32_e64 v71, null, 0, v71, s16
	v_cmp_gt_i32_e64 s16, 16, v55
	v_sub_nc_u32_e32 v60, v60, v97
	s_waitcnt vmcnt(0)
	v_add_co_u32 v72, s17, v76, v72
	v_add_co_ci_u32_e64 v73, null, v77, v73, s17
	v_add_co_u32 v74, s17, v78, v74
	v_add_co_ci_u32_e64 v75, null, v79, v75, s17
	v_cmp_gt_i64_e64 s17, 0, v[72:73]
	v_sub_co_u32 v2, s18, 0, v72
	v_sub_co_ci_u32_e64 v83, null, 0, v73, s18
	v_cmp_gt_i64_e64 s18, 0, v[74:75]
	s_and_b32 s17, s79, s17
	v_sub_co_u32 v61, s19, 0, v74
	v_cndmask_b32_e64 v77, v72, v2, s17
	v_cndmask_b32_e64 v76, v73, v83, s17
	s_and_b32 s18, s79, s18
	v_sub_co_ci_u32_e64 v63, null, 0, v75, s19
	v_mul_hi_u32 v2, v77, v8
	v_cndmask_b32_e64 v78, v74, v61, s18
	s_or_b32 s78, s16, s78
	v_cndmask_b32_e64 v63, v75, v63, s18
	v_mad_u64_u32 v[72:73], null, v76, v8, v[2:3]
	v_mov_b32_e32 v2, v72
	v_mov_b32_e32 v83, v73
	v_mad_u64_u32 v[72:73], null, v77, v9, v[2:3]
	v_mad_u64_u32 v[83:84], null, v76, v9, v[83:84]
	v_mul_hi_u32 v2, v78, v8
	v_add_co_u32 v79, s19, v83, v73
	v_mad_u64_u32 v[72:73], null, v63, v8, v[2:3]
	v_add_co_ci_u32_e64 v88, null, 0, v84, s19
	v_mad_u64_u32 v[83:84], null, v79, s22, 0
	v_mov_b32_e32 v2, v72
	v_mov_b32_e32 v61, v73
	v_mad_u64_u32 v[74:75], null, v88, s22, v[84:85]
	v_mad_u64_u32 v[72:73], null, v78, v9, v[2:3]
	;; [unrolled: 1-line block ×3, first 2 shown]
	v_sub_co_u32 v83, s19, v77, v83
	v_sub_co_ci_u32_e64 v84, null, v76, v74, s19
	v_add_co_u32 v75, s20, v61, v73
	v_cmp_le_u64_e64 s19, s[22:23], v[83:84]
	v_add_co_ci_u32_e64 v77, null, 0, v62, s20
	v_mad_u64_u32 v[61:62], null, v75, s22, 0
	v_cndmask_b32_e64 v83, 0, 1, s19
	v_mov_b32_e32 v2, v62
	v_add_co_u32 v62, s19, v79, v83
	v_add_co_ci_u32_e64 v72, null, 0, v88, s19
	v_mad_u64_u32 v[83:84], null, v77, s22, v[2:3]
	v_sub_co_u32 v2, s20, 0, v62
	v_sub_co_ci_u32_e64 v84, null, 0, v72, s20
	v_sub_co_u32 v61, s19, v78, v61
	v_cndmask_b32_e64 v73, v72, v84, s17
	v_cndmask_b32_e64 v72, v62, v2, s17
	v_sub_co_ci_u32_e64 v62, null, v63, v83, s19
	v_cmp_le_u64_e64 s17, s[22:23], v[61:62]
	v_cndmask_b32_e64 v2, 0, 1, s17
	v_add_co_u32 v2, s17, v75, v2
	v_add_co_ci_u32_e64 v83, null, 0, v77, s17
	v_sub_co_u32 v84, s17, 0, v2
	v_sub_co_ci_u32_e64 v61, null, 0, v83, s17
	v_cndmask_b32_e64 v74, v2, v84, s18
	v_cndmask_b32_e64 v75, v83, v61, s18
	global_store_dwordx4 v[80:81], v[72:75], off glc slc
	v_add_co_u32 v80, s17, v80, v113
	v_add_co_ci_u32_e64 v81, null, 0, v81, s17
	s_andn2_b32 exec_lo, exec_lo, s78
	s_cbranch_execnz .LBB2_656
; %bb.657:                              ;   in Loop: Header=BB2_499 Depth=2
	s_or_b32 exec_lo, exec_lo, s78
.LBB2_658:                              ;   in Loop: Header=BB2_499 Depth=2
	s_or_b32 exec_lo, exec_lo, s29
	v_and_b32_e32 v8, 8, v85
	s_mov_b32 s18, s28
	s_mov_b32 s17, exec_lo
                                        ; implicit-def: $vgpr83
                                        ; implicit-def: $vgpr2
                                        ; implicit-def: $vgpr84
	v_cndmask_b32_e32 v55, v57, v8, vcc_lo
	v_cmpx_ne_u32_e32 0, v55
	s_cbranch_execz .LBB2_660
; %bb.659:                              ;   in Loop: Header=BB2_499 Depth=2
	v_cmp_lt_i32_e64 s16, 0, v60
	v_sub_nc_u32_e32 v8, v57, v8
	s_or_b32 s18, s28, exec_lo
	v_cndmask_b32_e64 v2, 0, v97, s16
	v_cndmask_b32_e32 v8, 0, v8, vcc_lo
	v_sub_nc_u32_e32 v2, v2, v60
	v_add3_u32 v83, v58, v82, v8
	v_lshl_add_u32 v2, v2, 5, v59
	v_ashrrev_i32_e32 v9, 31, v2
	v_lshrrev_b32_e32 v9, 27, v9
	v_add_nc_u32_e32 v9, v2, v9
	v_and_b32_e32 v9, 0xffffffe0, v9
	v_sub_nc_u32_e32 v84, v2, v9
.LBB2_660:                              ;   in Loop: Header=BB2_499 Depth=2
	s_or_b32 exec_lo, exec_lo, s17
	s_andn2_b32 s16, s28, exec_lo
	s_and_b32 s17, s18, exec_lo
	s_or_b32 s28, s16, s17
.LBB2_661:                              ;   in Loop: Header=BB2_499 Depth=2
	s_or_b32 exec_lo, exec_lo, s27
	v_mov_b32_e32 v82, s26
	s_mov_b64 s[26:27], s[22:23]
	s_and_saveexec_b32 s29, s28
	s_cbranch_execz .LBB2_680
.LBB2_662:                              ;   in Loop: Header=BB2_499 Depth=2
	v_mov_b32_e32 v8, -1
	v_mov_b32_e32 v9, -1
	s_cmp_lt_i32 s22, 1
	s_cbranch_scc1 .LBB2_667
; %bb.663:                              ;   in Loop: Header=BB2_499 Depth=2
	s_cmp_lg_u32 s22, 1
	s_cbranch_scc1 .LBB2_665
; %bb.664:                              ;   in Loop: Header=BB2_499 Depth=2
	s_mov_b32 s20, s23
	s_mov_b64 s[18:19], 1
	s_mov_b64 s[16:17], s[20:21]
	s_branch .LBB2_666
.LBB2_665:                              ;   in Loop: Header=BB2_499 Depth=2
	s_mov_b64 s[18:19], 3
	s_mov_b64 s[16:17], 0
.LBB2_666:                              ;   in Loop: Header=BB2_499 Depth=2
	v_cmp_lt_u64_e64 s19, s[18:19], s[26:27]
	s_or_b32 s20, s17, 2.0
	s_and_b32 s19, s19, exec_lo
	s_cselect_b32 s19, 0, s26
	s_cselect_b32 s17, s17, s20
	s_sub_i32 s18, s18, s19
	s_mov_b32 s19, s23
	s_lshl_b32 s18, s18, 1
	s_or_b32 s20, s17, 0x20000000
	s_or_b32 s18, s18, 1
	v_cmp_lt_u64_e64 s19, s[18:19], s[26:27]
	s_and_b32 s19, s19, exec_lo
	s_cselect_b32 s19, 0, s26
	s_cselect_b32 s17, s17, s20
	s_cselect_b32 s20, 0, s27
	s_sub_u32 s18, s18, s19
	s_subb_u32 s19, 0, s20
	s_or_b32 s28, s17, 0x10000000
	s_lshl_b64 s[18:19], s[18:19], 1
	s_or_b32 s18, s18, 1
	v_cmp_lt_u64_e64 s20, s[18:19], s[26:27]
	s_and_b32 s20, s20, exec_lo
	s_cselect_b32 s20, 0, s26
	s_cselect_b32 s17, s17, s28
	s_cselect_b32 s28, 0, s27
	s_sub_u32 s18, s18, s20
	s_subb_u32 s19, s19, s28
	s_or_b32 s28, s17, 0x8000000
	s_lshl_b64 s[18:19], s[18:19], 1
	;; [unrolled: 10-line block ×30, first 2 shown]
	v_mov_b32_e32 v9, s17
	s_or_b32 s18, s18, 1
	v_cmp_lt_u64_e64 s20, s[18:19], s[26:27]
	s_and_b32 s20, s20, exec_lo
	s_cselect_b32 s20, 0, s26
	s_cselect_b32 s16, s16, s28
	;; [unrolled: 1-line block ×3, first 2 shown]
	s_sub_u32 s18, s18, s20
	s_subb_u32 s19, s19, s28
	s_or_b32 s28, s16, 2.0
	s_lshl_b64 s[18:19], s[18:19], 1
	s_or_b32 s18, s18, 1
	v_cmp_lt_u64_e64 s20, s[18:19], s[26:27]
	s_and_b32 s20, s20, exec_lo
	s_cselect_b32 s20, 0, s26
	s_cselect_b32 s16, s16, s28
	s_cselect_b32 s28, 0, s27
	s_sub_u32 s18, s18, s20
	s_subb_u32 s19, s19, s28
	s_or_b32 s28, s16, 0x20000000
	s_lshl_b64 s[18:19], s[18:19], 1
	s_or_b32 s18, s18, 1
	v_cmp_lt_u64_e64 s20, s[18:19], s[26:27]
	s_and_b32 s20, s20, exec_lo
	s_cselect_b32 s20, 0, s26
	s_cselect_b32 s16, s16, s28
	s_cselect_b32 s28, 0, s27
	s_sub_u32 s18, s18, s20
	s_subb_u32 s19, s19, s28
	s_or_b32 s28, s16, 0x10000000
	;; [unrolled: 10-line block ×29, first 2 shown]
	s_lshl_b64 s[18:19], s[18:19], 1
	s_or_b32 s18, s18, 1
	v_cmp_lt_u64_e64 s20, s[18:19], s[26:27]
	s_and_b32 s20, s20, exec_lo
	s_cselect_b32 s20, 0, s26
	s_cselect_b32 s16, s16, s28
	;; [unrolled: 1-line block ×3, first 2 shown]
	s_sub_u32 s18, s18, s20
	s_subb_u32 s19, s19, s28
	s_lshl_b64 s[18:19], s[18:19], 1
	s_or_b32 s18, s18, 1
	v_cmp_ge_u64_e64 s18, s[18:19], s[26:27]
	v_cndmask_b32_e64 v8, 0, 1, s18
	v_or_b32_e32 v8, s16, v8
.LBB2_667:                              ;   in Loop: Header=BB2_499 Depth=2
	v_ashrrev_i32_e32 v10, 31, v2
	v_ashrrev_i32_e32 v11, 31, v55
	s_mov_b32 s20, exec_lo
	v_lshrrev_b32_e32 v10, 27, v10
	v_add_nc_u32_e32 v2, v2, v10
	v_add_nc_u32_sdwa v10, v55, v11 dst_sel:DWORD dst_unused:UNUSED_PAD src0_sel:DWORD src1_sel:BYTE_3
	v_ashrrev_i32_e32 v11, 5, v2
	v_and_b32_e32 v85, 0xffffff00, v10
	v_lshlrev_b32_e32 v2, 3, v84
	v_ashrrev_i32_e32 v10, 8, v10
	v_sub_nc_u32_e32 v57, v55, v85
	v_lshl_add_u32 v2, v11, 8, v2
	v_sub_nc_u32_e32 v10, v10, v11
	v_cmp_lt_i32_e32 vcc_lo, 7, v57
	v_sub_nc_u32_e32 v59, v55, v2
	v_add_co_ci_u32_e64 v58, null, 0, v10, vcc_lo
	v_cmpx_lt_i32_e32 7, v59
	s_cbranch_execz .LBB2_671
; %bb.668:                              ;   in Loop: Header=BB2_499 Depth=2
	s_trap 2
	ds_read_b64 v[80:81], v0
	v_add_nc_u32_e32 v2, v2, v83
	s_mov_b32 s28, 0
	v_ashrrev_i32_e32 v60, 31, v2
	v_add_co_u32 v10, s16, v2, v66
	v_add_co_ci_u32_e64 v11, null, v60, v67, s16
	v_add_co_u32 v70, s16, v2, v68
	v_add_co_ci_u32_e64 v71, null, v60, v69, s16
	s_waitcnt lgkmcnt(0)
	v_add_co_u32 v80, s16, v80, v2
	v_add_co_ci_u32_e64 v81, null, v81, v60, s16
	v_cmp_gt_i32_e64 s16, 0, v82
.LBB2_669:                              ;   Parent Loop BB2_47 Depth=1
                                        ;     Parent Loop BB2_499 Depth=2
                                        ; =>    This Inner Loop Header: Depth=3
	flat_load_dwordx2 v[60:61], v[10:11] slc
	flat_load_dwordx2 v[62:63], v[80:81] slc
	v_mov_b32_e32 v73, v3
	v_sub_nc_u32_e32 v59, v59, v114
	v_add_co_u32 v10, s17, v10, v114
	v_add_co_ci_u32_e64 v11, null, 0, v11, s17
	v_add_co_u32 v80, s17, v80, v114
	v_add_co_ci_u32_e64 v81, null, 0, v81, s17
	v_cmp_gt_i32_e64 s17, 8, v59
	v_sub_nc_u32_e32 v58, v58, v97
	s_waitcnt vmcnt(0) lgkmcnt(0)
	v_add_co_u32 v60, s18, v62, v60
	v_add_co_ci_u32_e64 v61, null, v63, v61, s18
	v_sub_co_u32 v2, s19, 0, v60
	v_cmp_gt_i64_e64 s18, 0, v[60:61]
	v_sub_co_ci_u32_e64 v62, null, 0, v61, s19
	s_and_b32 s18, s16, s18
	s_or_b32 s28, s17, s28
	v_cndmask_b32_e64 v75, v60, v2, s18
	v_cndmask_b32_e64 v74, v61, v62, s18
	v_mul_hi_u32 v2, v75, v8
	v_mad_u64_u32 v[60:61], null, v74, v8, v[2:3]
	v_mov_b32_e32 v2, v60
	v_mov_b32_e32 v72, v61
	v_mad_u64_u32 v[60:61], null, v75, v9, v[2:3]
	v_mad_u64_u32 v[62:63], null, v74, v9, v[72:73]
	v_add_co_u32 v2, s19, v62, v61
	v_add_co_ci_u32_e64 v62, null, 0, v63, s19
	v_mul_lo_u32 v72, v2, s27
	v_mad_u64_u32 v[60:61], null, v2, s26, 0
	v_mul_lo_u32 v63, v62, s26
	v_sub_co_u32 v60, s19, v75, v60
	v_add3_u32 v61, v61, v72, v63
	v_sub_co_ci_u32_e64 v61, null, v74, v61, s19
	v_cmp_le_u64_e64 s19, s[26:27], v[60:61]
	v_cndmask_b32_e64 v60, 0, 1, s19
	v_add_co_u32 v2, s19, v2, v60
	v_add_co_ci_u32_e64 v60, null, 0, v62, s19
	v_sub_co_u32 v62, s19, 0, v2
	v_sub_co_ci_u32_e64 v61, null, 0, v60, s19
	v_cndmask_b32_e64 v61, v60, v61, s18
	v_cndmask_b32_e64 v60, v2, v62, s18
	flat_store_dwordx2 v[70:71], v[60:61] glc slc
	v_add_co_u32 v70, s18, v70, v114
	v_add_co_ci_u32_e64 v71, null, 0, v71, s18
	s_andn2_b32 exec_lo, exec_lo, s28
	s_cbranch_execnz .LBB2_669
; %bb.670:                              ;   in Loop: Header=BB2_499 Depth=2
	s_or_b32 exec_lo, exec_lo, s28
.LBB2_671:                              ;   in Loop: Header=BB2_499 Depth=2
	s_or_b32 exec_lo, exec_lo, s20
	v_and_b32_e32 v2, 7, v55
	v_cndmask_b32_e32 v10, v57, v2, vcc_lo
	v_cmp_ne_u32_e64 s16, 0, v10
	s_and_b32 exec_lo, exec_lo, s16
	s_cbranch_execz .LBB2_680
; %bb.672:                              ;   in Loop: Header=BB2_499 Depth=2
	v_mov_b32_e32 v8, -1
	v_mov_b32_e32 v9, -1
	s_cmp_lt_i32 s22, 1
	s_cbranch_scc1 .LBB2_677
; %bb.673:                              ;   in Loop: Header=BB2_499 Depth=2
	s_cmp_lg_u32 s22, 1
	s_cbranch_scc1 .LBB2_675
; %bb.674:                              ;   in Loop: Header=BB2_499 Depth=2
	s_mov_b32 s20, s23
	s_mov_b64 s[18:19], 1
	s_mov_b64 s[16:17], s[20:21]
	s_branch .LBB2_676
.LBB2_675:                              ;   in Loop: Header=BB2_499 Depth=2
	s_mov_b64 s[18:19], 3
	s_mov_b64 s[16:17], 0
.LBB2_676:                              ;   in Loop: Header=BB2_499 Depth=2
	v_cmp_lt_u64_e64 s19, s[18:19], s[26:27]
	s_or_b32 s20, s17, 2.0
	s_and_b32 s19, s19, exec_lo
	s_cselect_b32 s19, 0, s26
	s_cselect_b32 s17, s17, s20
	s_sub_i32 s18, s18, s19
	s_or_b32 s19, s17, 0x20000000
	s_lshl_b32 s18, s18, 1
	s_or_b32 s22, s18, 1
	v_cmp_lt_u64_e64 s18, s[22:23], s[26:27]
	s_and_b32 s18, s18, exec_lo
	s_cselect_b32 s18, 0, s26
	s_cselect_b32 s17, s17, s19
	s_cselect_b32 s19, 0, s27
	s_sub_u32 s18, s22, s18
	s_subb_u32 s19, 0, s19
	s_or_b32 s22, s17, 0x10000000
	s_lshl_b64 s[18:19], s[18:19], 1
	s_or_b32 s18, s18, 1
	v_cmp_lt_u64_e64 s20, s[18:19], s[26:27]
	s_and_b32 s20, s20, exec_lo
	s_cselect_b32 s20, 0, s26
	s_cselect_b32 s17, s17, s22
	s_cselect_b32 s22, 0, s27
	s_sub_u32 s18, s18, s20
	s_subb_u32 s19, s19, s22
	s_or_b32 s22, s17, 0x8000000
	s_lshl_b64 s[18:19], s[18:19], 1
	s_or_b32 s18, s18, 1
	v_cmp_lt_u64_e64 s20, s[18:19], s[26:27]
	s_and_b32 s20, s20, exec_lo
	s_cselect_b32 s20, 0, s26
	s_cselect_b32 s17, s17, s22
	s_cselect_b32 s22, 0, s27
	s_sub_u32 s18, s18, s20
	s_subb_u32 s19, s19, s22
	s_or_b32 s22, s17, 0x4000000
	s_lshl_b64 s[18:19], s[18:19], 1
	s_or_b32 s18, s18, 1
	v_cmp_lt_u64_e64 s20, s[18:19], s[26:27]
	s_and_b32 s20, s20, exec_lo
	s_cselect_b32 s20, 0, s26
	s_cselect_b32 s17, s17, s22
	s_cselect_b32 s22, 0, s27
	s_sub_u32 s18, s18, s20
	s_subb_u32 s19, s19, s22
	s_or_b32 s22, s17, 0x2000000
	s_lshl_b64 s[18:19], s[18:19], 1
	s_or_b32 s18, s18, 1
	v_cmp_lt_u64_e64 s20, s[18:19], s[26:27]
	s_and_b32 s20, s20, exec_lo
	s_cselect_b32 s20, 0, s26
	s_cselect_b32 s17, s17, s22
	s_cselect_b32 s22, 0, s27
	s_sub_u32 s18, s18, s20
	s_subb_u32 s19, s19, s22
	s_or_b32 s22, s17, 0x1000000
	s_lshl_b64 s[18:19], s[18:19], 1
	s_or_b32 s18, s18, 1
	v_cmp_lt_u64_e64 s20, s[18:19], s[26:27]
	s_and_b32 s20, s20, exec_lo
	s_cselect_b32 s20, 0, s26
	s_cselect_b32 s17, s17, s22
	s_cselect_b32 s22, 0, s27
	s_sub_u32 s18, s18, s20
	s_subb_u32 s19, s19, s22
	s_or_b32 s22, s17, 0x800000
	s_lshl_b64 s[18:19], s[18:19], 1
	s_or_b32 s18, s18, 1
	v_cmp_lt_u64_e64 s20, s[18:19], s[26:27]
	s_and_b32 s20, s20, exec_lo
	s_cselect_b32 s20, 0, s26
	s_cselect_b32 s17, s17, s22
	s_cselect_b32 s22, 0, s27
	s_sub_u32 s18, s18, s20
	s_subb_u32 s19, s19, s22
	s_or_b32 s22, s17, 0x400000
	s_lshl_b64 s[18:19], s[18:19], 1
	s_or_b32 s18, s18, 1
	v_cmp_lt_u64_e64 s20, s[18:19], s[26:27]
	s_and_b32 s20, s20, exec_lo
	s_cselect_b32 s20, 0, s26
	s_cselect_b32 s17, s17, s22
	s_cselect_b32 s22, 0, s27
	s_sub_u32 s18, s18, s20
	s_subb_u32 s19, s19, s22
	s_or_b32 s22, s17, 0x200000
	s_lshl_b64 s[18:19], s[18:19], 1
	s_or_b32 s18, s18, 1
	v_cmp_lt_u64_e64 s20, s[18:19], s[26:27]
	s_and_b32 s20, s20, exec_lo
	s_cselect_b32 s20, 0, s26
	s_cselect_b32 s17, s17, s22
	s_cselect_b32 s22, 0, s27
	s_sub_u32 s18, s18, s20
	s_subb_u32 s19, s19, s22
	s_or_b32 s22, s17, 0x100000
	s_lshl_b64 s[18:19], s[18:19], 1
	s_or_b32 s18, s18, 1
	v_cmp_lt_u64_e64 s20, s[18:19], s[26:27]
	s_and_b32 s20, s20, exec_lo
	s_cselect_b32 s20, 0, s26
	s_cselect_b32 s17, s17, s22
	s_cselect_b32 s22, 0, s27
	s_sub_u32 s18, s18, s20
	s_subb_u32 s19, s19, s22
	s_or_b32 s22, s17, 0x80000
	s_lshl_b64 s[18:19], s[18:19], 1
	s_or_b32 s18, s18, 1
	v_cmp_lt_u64_e64 s20, s[18:19], s[26:27]
	s_and_b32 s20, s20, exec_lo
	s_cselect_b32 s20, 0, s26
	s_cselect_b32 s17, s17, s22
	s_cselect_b32 s22, 0, s27
	s_sub_u32 s18, s18, s20
	s_subb_u32 s19, s19, s22
	s_or_b32 s22, s17, 0x40000
	s_lshl_b64 s[18:19], s[18:19], 1
	s_or_b32 s18, s18, 1
	v_cmp_lt_u64_e64 s20, s[18:19], s[26:27]
	s_and_b32 s20, s20, exec_lo
	s_cselect_b32 s20, 0, s26
	s_cselect_b32 s17, s17, s22
	s_cselect_b32 s22, 0, s27
	s_sub_u32 s18, s18, s20
	s_subb_u32 s19, s19, s22
	s_or_b32 s22, s17, 0x20000
	s_lshl_b64 s[18:19], s[18:19], 1
	s_or_b32 s18, s18, 1
	v_cmp_lt_u64_e64 s20, s[18:19], s[26:27]
	s_and_b32 s20, s20, exec_lo
	s_cselect_b32 s20, 0, s26
	s_cselect_b32 s17, s17, s22
	s_cselect_b32 s22, 0, s27
	s_sub_u32 s18, s18, s20
	s_subb_u32 s19, s19, s22
	s_or_b32 s22, s17, 0x10000
	s_lshl_b64 s[18:19], s[18:19], 1
	s_or_b32 s18, s18, 1
	v_cmp_lt_u64_e64 s20, s[18:19], s[26:27]
	s_and_b32 s20, s20, exec_lo
	s_cselect_b32 s20, 0, s26
	s_cselect_b32 s17, s17, s22
	s_cselect_b32 s22, 0, s27
	s_sub_u32 s18, s18, s20
	s_subb_u32 s19, s19, s22
	s_or_b32 s22, s17, 0x8000
	s_lshl_b64 s[18:19], s[18:19], 1
	s_or_b32 s18, s18, 1
	v_cmp_lt_u64_e64 s20, s[18:19], s[26:27]
	s_and_b32 s20, s20, exec_lo
	s_cselect_b32 s20, 0, s26
	s_cselect_b32 s17, s17, s22
	s_cselect_b32 s22, 0, s27
	s_sub_u32 s18, s18, s20
	s_subb_u32 s19, s19, s22
	s_or_b32 s22, s17, 0x4000
	s_lshl_b64 s[18:19], s[18:19], 1
	s_or_b32 s18, s18, 1
	v_cmp_lt_u64_e64 s20, s[18:19], s[26:27]
	s_and_b32 s20, s20, exec_lo
	s_cselect_b32 s20, 0, s26
	s_cselect_b32 s17, s17, s22
	s_cselect_b32 s22, 0, s27
	s_sub_u32 s18, s18, s20
	s_subb_u32 s19, s19, s22
	s_or_b32 s22, s17, 0x2000
	s_lshl_b64 s[18:19], s[18:19], 1
	s_or_b32 s18, s18, 1
	v_cmp_lt_u64_e64 s20, s[18:19], s[26:27]
	s_and_b32 s20, s20, exec_lo
	s_cselect_b32 s20, 0, s26
	s_cselect_b32 s17, s17, s22
	s_cselect_b32 s22, 0, s27
	s_sub_u32 s18, s18, s20
	s_subb_u32 s19, s19, s22
	s_or_b32 s22, s17, 0x1000
	s_lshl_b64 s[18:19], s[18:19], 1
	s_or_b32 s18, s18, 1
	v_cmp_lt_u64_e64 s20, s[18:19], s[26:27]
	s_and_b32 s20, s20, exec_lo
	s_cselect_b32 s20, 0, s26
	s_cselect_b32 s17, s17, s22
	s_cselect_b32 s22, 0, s27
	s_sub_u32 s18, s18, s20
	s_subb_u32 s19, s19, s22
	s_or_b32 s22, s17, 0x800
	s_lshl_b64 s[18:19], s[18:19], 1
	s_or_b32 s18, s18, 1
	v_cmp_lt_u64_e64 s20, s[18:19], s[26:27]
	s_and_b32 s20, s20, exec_lo
	s_cselect_b32 s20, 0, s26
	s_cselect_b32 s17, s17, s22
	s_cselect_b32 s22, 0, s27
	s_sub_u32 s18, s18, s20
	s_subb_u32 s19, s19, s22
	s_or_b32 s22, s17, 0x400
	s_lshl_b64 s[18:19], s[18:19], 1
	s_or_b32 s18, s18, 1
	v_cmp_lt_u64_e64 s20, s[18:19], s[26:27]
	s_and_b32 s20, s20, exec_lo
	s_cselect_b32 s20, 0, s26
	s_cselect_b32 s17, s17, s22
	s_cselect_b32 s22, 0, s27
	s_sub_u32 s18, s18, s20
	s_subb_u32 s19, s19, s22
	s_or_b32 s22, s17, 0x200
	s_lshl_b64 s[18:19], s[18:19], 1
	s_or_b32 s18, s18, 1
	v_cmp_lt_u64_e64 s20, s[18:19], s[26:27]
	s_and_b32 s20, s20, exec_lo
	s_cselect_b32 s20, 0, s26
	s_cselect_b32 s17, s17, s22
	s_cselect_b32 s22, 0, s27
	s_sub_u32 s18, s18, s20
	s_subb_u32 s19, s19, s22
	s_or_b32 s22, s17, 0x100
	s_lshl_b64 s[18:19], s[18:19], 1
	s_or_b32 s18, s18, 1
	v_cmp_lt_u64_e64 s20, s[18:19], s[26:27]
	s_and_b32 s20, s20, exec_lo
	s_cselect_b32 s20, 0, s26
	s_cselect_b32 s17, s17, s22
	s_cselect_b32 s22, 0, s27
	s_sub_u32 s18, s18, s20
	s_subb_u32 s19, s19, s22
	s_or_b32 s22, s17, 0x80
	s_lshl_b64 s[18:19], s[18:19], 1
	s_or_b32 s18, s18, 1
	v_cmp_lt_u64_e64 s20, s[18:19], s[26:27]
	s_and_b32 s20, s20, exec_lo
	s_cselect_b32 s20, 0, s26
	s_cselect_b32 s17, s17, s22
	s_cselect_b32 s22, 0, s27
	s_sub_u32 s18, s18, s20
	s_subb_u32 s19, s19, s22
	s_or_b32 s22, s17, 64
	s_lshl_b64 s[18:19], s[18:19], 1
	s_or_b32 s18, s18, 1
	v_cmp_lt_u64_e64 s20, s[18:19], s[26:27]
	s_and_b32 s20, s20, exec_lo
	s_cselect_b32 s20, 0, s26
	s_cselect_b32 s17, s17, s22
	s_cselect_b32 s22, 0, s27
	s_sub_u32 s18, s18, s20
	s_subb_u32 s19, s19, s22
	s_or_b32 s22, s17, 32
	s_lshl_b64 s[18:19], s[18:19], 1
	s_or_b32 s18, s18, 1
	v_cmp_lt_u64_e64 s20, s[18:19], s[26:27]
	s_and_b32 s20, s20, exec_lo
	s_cselect_b32 s20, 0, s26
	s_cselect_b32 s17, s17, s22
	s_cselect_b32 s22, 0, s27
	s_sub_u32 s18, s18, s20
	s_subb_u32 s19, s19, s22
	s_or_b32 s22, s17, 16
	s_lshl_b64 s[18:19], s[18:19], 1
	s_or_b32 s18, s18, 1
	v_cmp_lt_u64_e64 s20, s[18:19], s[26:27]
	s_and_b32 s20, s20, exec_lo
	s_cselect_b32 s20, 0, s26
	s_cselect_b32 s17, s17, s22
	s_cselect_b32 s22, 0, s27
	s_sub_u32 s18, s18, s20
	s_subb_u32 s19, s19, s22
	s_or_b32 s22, s17, 8
	s_lshl_b64 s[18:19], s[18:19], 1
	s_or_b32 s18, s18, 1
	v_cmp_lt_u64_e64 s20, s[18:19], s[26:27]
	s_and_b32 s20, s20, exec_lo
	s_cselect_b32 s20, 0, s26
	s_cselect_b32 s17, s17, s22
	s_cselect_b32 s22, 0, s27
	s_sub_u32 s18, s18, s20
	s_subb_u32 s19, s19, s22
	s_or_b32 s22, s17, 4
	s_lshl_b64 s[18:19], s[18:19], 1
	s_or_b32 s18, s18, 1
	v_cmp_lt_u64_e64 s20, s[18:19], s[26:27]
	s_and_b32 s20, s20, exec_lo
	s_cselect_b32 s20, 0, s26
	s_cselect_b32 s17, s17, s22
	s_cselect_b32 s22, 0, s27
	s_sub_u32 s18, s18, s20
	s_subb_u32 s19, s19, s22
	s_or_b32 s22, s17, 2
	s_lshl_b64 s[18:19], s[18:19], 1
	s_or_b32 s18, s18, 1
	v_cmp_lt_u64_e64 s20, s[18:19], s[26:27]
	s_and_b32 s20, s20, exec_lo
	s_cselect_b32 s20, 0, s26
	s_cselect_b32 s17, s17, s22
	s_cselect_b32 s22, 0, s27
	s_sub_u32 s18, s18, s20
	s_subb_u32 s19, s19, s22
	s_or_b32 s22, s17, 1
	s_lshl_b64 s[18:19], s[18:19], 1
	s_or_b32 s18, s18, 1
	v_cmp_lt_u64_e64 s20, s[18:19], s[26:27]
	s_and_b32 s20, s20, exec_lo
	s_cselect_b32 s20, 0, s26
	s_cselect_b32 s17, s17, s22
	s_cselect_b32 s22, 0, s27
	s_sub_u32 s18, s18, s20
	s_subb_u32 s19, s19, s22
	s_or_b32 s22, s16, 0x80000000
	s_lshl_b64 s[18:19], s[18:19], 1
	v_mov_b32_e32 v9, s17
	s_or_b32 s18, s18, 1
	v_cmp_lt_u64_e64 s20, s[18:19], s[26:27]
	s_and_b32 s20, s20, exec_lo
	s_cselect_b32 s20, 0, s26
	s_cselect_b32 s16, s16, s22
	;; [unrolled: 1-line block ×3, first 2 shown]
	s_sub_u32 s18, s18, s20
	s_subb_u32 s19, s19, s22
	s_or_b32 s22, s16, 2.0
	s_lshl_b64 s[18:19], s[18:19], 1
	s_or_b32 s18, s18, 1
	v_cmp_lt_u64_e64 s20, s[18:19], s[26:27]
	s_and_b32 s20, s20, exec_lo
	s_cselect_b32 s20, 0, s26
	s_cselect_b32 s16, s16, s22
	s_cselect_b32 s22, 0, s27
	s_sub_u32 s18, s18, s20
	s_subb_u32 s19, s19, s22
	s_or_b32 s22, s16, 0x20000000
	s_lshl_b64 s[18:19], s[18:19], 1
	s_or_b32 s18, s18, 1
	v_cmp_lt_u64_e64 s20, s[18:19], s[26:27]
	s_and_b32 s20, s20, exec_lo
	s_cselect_b32 s20, 0, s26
	s_cselect_b32 s16, s16, s22
	s_cselect_b32 s22, 0, s27
	s_sub_u32 s18, s18, s20
	s_subb_u32 s19, s19, s22
	s_or_b32 s22, s16, 0x10000000
	;; [unrolled: 10-line block ×29, first 2 shown]
	s_lshl_b64 s[18:19], s[18:19], 1
	s_or_b32 s18, s18, 1
	v_cmp_lt_u64_e64 s20, s[18:19], s[26:27]
	s_and_b32 s20, s20, exec_lo
	s_cselect_b32 s20, 0, s26
	s_cselect_b32 s16, s16, s22
	;; [unrolled: 1-line block ×3, first 2 shown]
	s_sub_u32 s18, s18, s20
	s_subb_u32 s19, s19, s22
	s_lshl_b64 s[18:19], s[18:19], 1
	s_or_b32 s18, s18, 1
	v_cmp_ge_u64_e64 s18, s[18:19], s[26:27]
	v_cndmask_b32_e64 v8, 0, 1, s18
	v_or_b32_e32 v8, s16, v8
.LBB2_677:                              ;   in Loop: Header=BB2_499 Depth=2
	v_cmp_lt_i32_e64 s16, 0, v58
	v_cndmask_b32_e64 v11, 0, v97, s16
	v_sub_nc_u32_e32 v11, v11, v58
	v_lshl_add_u32 v11, v11, 5, v84
	v_ashrrev_i32_e32 v55, 31, v11
	v_lshrrev_b32_e32 v55, 27, v55
	v_add_nc_u32_e32 v55, v11, v55
	v_and_b32_e32 v70, 0x1fffffe0, v55
	v_lshlrev_b32_e32 v55, 3, v55
	v_sub_nc_u32_e32 v11, v11, v70
	v_and_b32_e32 v55, 0xffffff00, v55
	v_lshl_add_u32 v11, v11, 3, v55
	v_sub_nc_u32_e32 v55, v10, v11
	v_cmp_lt_i32_e64 s16, 7, v55
	s_and_b32 exec_lo, exec_lo, s16
	s_cbranch_execz .LBB2_680
; %bb.678:                              ;   in Loop: Header=BB2_499 Depth=2
	v_sub_nc_u32_e32 v2, v57, v2
	s_trap 2
	ds_read_b64 v[70:71], v0
	v_add_nc_u32_e32 v10, v85, v83
	s_mov_b32 s19, 0
	v_cndmask_b32_e32 v2, 0, v2, vcc_lo
	v_add3_u32 v2, v10, v2, v11
	v_ashrrev_i32_e32 v80, 31, v2
	v_add_co_u32 v10, vcc_lo, v2, v66
	v_add_co_ci_u32_e64 v11, null, v80, v67, vcc_lo
	s_waitcnt lgkmcnt(0)
	v_add_co_u32 v66, vcc_lo, v70, v2
	v_add_co_ci_u32_e64 v67, null, v71, v80, vcc_lo
	v_add_co_u32 v68, vcc_lo, v2, v68
	v_add_co_ci_u32_e64 v69, null, v80, v69, vcc_lo
	v_cmp_gt_i32_e32 vcc_lo, 0, v82
.LBB2_679:                              ;   Parent Loop BB2_47 Depth=1
                                        ;     Parent Loop BB2_499 Depth=2
                                        ; =>    This Inner Loop Header: Depth=3
	flat_load_dwordx2 v[70:71], v[10:11] slc
	flat_load_dwordx2 v[80:81], v[66:67] slc
	v_mov_b32_e32 v82, v3
	v_sub_nc_u32_e32 v55, v55, v115
	v_add_co_u32 v10, s16, v10, v115
	v_add_co_ci_u32_e64 v11, null, 0, v11, s16
	v_add_co_u32 v66, s16, v66, v115
	v_add_co_ci_u32_e64 v67, null, 0, v67, s16
	v_cmp_gt_i32_e64 s16, 8, v55
	s_waitcnt vmcnt(0) lgkmcnt(0)
	v_add_co_u32 v70, s17, v80, v70
	v_add_co_ci_u32_e64 v71, null, v81, v71, s17
	v_sub_co_u32 v2, s18, 0, v70
	v_cmp_gt_i64_e64 s17, 0, v[70:71]
	v_sub_co_ci_u32_e64 v80, null, 0, v71, s18
	s_and_b32 s17, vcc_lo, s17
	s_or_b32 s19, s16, s19
	v_cndmask_b32_e64 v84, v70, v2, s17
	v_cndmask_b32_e64 v83, v71, v80, s17
	v_mul_hi_u32 v2, v84, v8
	v_mad_u64_u32 v[70:71], null, v83, v8, v[2:3]
	v_mov_b32_e32 v2, v70
	v_mov_b32_e32 v81, v71
	v_mad_u64_u32 v[70:71], null, v84, v9, v[2:3]
	v_mad_u64_u32 v[80:81], null, v83, v9, v[81:82]
	v_add_co_u32 v2, s18, v80, v71
	v_add_co_ci_u32_e64 v80, null, 0, v81, s18
	v_mul_lo_u32 v82, v2, s27
	v_mad_u64_u32 v[70:71], null, v2, s26, 0
	v_mul_lo_u32 v81, v80, s26
	v_sub_co_u32 v70, s18, v84, v70
	v_add3_u32 v71, v71, v82, v81
	v_sub_co_ci_u32_e64 v71, null, v83, v71, s18
	v_cmp_le_u64_e64 s18, s[26:27], v[70:71]
	v_cndmask_b32_e64 v70, 0, 1, s18
	v_add_co_u32 v2, s18, v2, v70
	v_add_co_ci_u32_e64 v70, null, 0, v80, s18
	v_sub_co_u32 v80, s18, 0, v2
	v_sub_co_ci_u32_e64 v71, null, 0, v70, s18
	v_cndmask_b32_e64 v71, v70, v71, s17
	v_cndmask_b32_e64 v70, v2, v80, s17
	flat_store_dwordx2 v[68:69], v[70:71] glc slc
	v_add_co_u32 v68, s17, v68, v115
	v_add_co_ci_u32_e64 v69, null, 0, v69, s17
	s_andn2_b32 exec_lo, exec_lo, s19
	s_cbranch_execnz .LBB2_679
.LBB2_680:                              ;   in Loop: Header=BB2_499 Depth=2
	s_or_b32 exec_lo, exec_lo, s29
	v_cmp_lt_i32_e64 s16, 0, v53
	s_and_saveexec_b32 s17, s6
	s_cbranch_execz .LBB2_576
.LBB2_681:                              ;   in Loop: Header=BB2_499 Depth=2
	s_and_saveexec_b32 s18, s44
	s_xor_b32 s18, exec_lo, s18
	s_cbranch_execz .LBB2_696
; %bb.682:                              ;   in Loop: Header=BB2_499 Depth=2
	s_and_saveexec_b32 s19, s11
	s_cbranch_execz .LBB2_695
; %bb.683:                              ;   in Loop: Header=BB2_499 Depth=2
	s_mov_b32 s22, exec_lo
	s_mov_b32 s20, exec_lo
	v_mbcnt_lo_u32_b32 v2, s22, 0
	s_waitcnt vmcnt(0) lgkmcnt(0)
	s_waitcnt_vscnt null, 0x0
	buffer_gl1_inv
	buffer_gl0_inv
	v_cmpx_eq_u32_e32 0, v2
	s_cbranch_execz .LBB2_685
; %bb.684:                              ;   in Loop: Header=BB2_499 Depth=2
	s_bcnt1_i32_b32 s22, s22
	v_mov_b32_e32 v2, s22
	ds_add_u64 v0, v[2:3]
	s_trap 2
.LBB2_685:                              ;   in Loop: Header=BB2_499 Depth=2
	s_or_b32 exec_lo, exec_lo, s20
	s_trap 2
	ds_read_b64 v[8:9], v0
	s_waitcnt lgkmcnt(0)
	buffer_gl0_inv
	v_add_co_u32 v12, vcc_lo, v12, v97
	v_add_co_ci_u32_e64 v13, null, 0, v13, vcc_lo
	s_mov_b32 s20, exec_lo
	v_cmpx_lt_u64_e64 v[8:9], v[12:13]
	s_cbranch_execz .LBB2_694
; %bb.686:                              ;   in Loop: Header=BB2_499 Depth=2
	s_mov_b32 s22, 0
	s_mov_b32 s28, 0
                                        ; implicit-def: $sgpr26
                                        ; implicit-def: $sgpr27
	s_inst_prefetch 0x1
	s_branch .LBB2_688
	.p2align	6
.LBB2_687:                              ;   in Loop: Header=BB2_688 Depth=3
	s_or_b32 exec_lo, exec_lo, s78
	s_and_b32 s29, exec_lo, s79
	s_or_b32 s22, s29, s22
	s_andn2_b32 s26, s26, exec_lo
	s_and_b32 s29, s27, exec_lo
	s_or_b32 s26, s26, s29
	s_andn2_b32 exec_lo, exec_lo, s22
	s_cbranch_execz .LBB2_692
.LBB2_688:                              ;   Parent Loop BB2_47 Depth=1
                                        ;     Parent Loop BB2_499 Depth=2
                                        ; =>    This Inner Loop Header: Depth=3
	s_add_i32 s28, s28, 1
	s_cmpk_lg_i32 s28, 0x2710
	s_cselect_b32 s29, -1, 0
	s_and_b32 vcc_lo, exec_lo, s29
	s_cbranch_vccz .LBB2_690
; %bb.689:                              ;   in Loop: Header=BB2_688 Depth=3
	s_mov_b32 s79, -1
	s_or_b32 s27, s27, exec_lo
	s_and_saveexec_b32 s78, s29
	s_cbranch_execz .LBB2_687
	s_branch .LBB2_691
	.p2align	6
.LBB2_690:                              ;   in Loop: Header=BB2_688 Depth=3
	s_trap 2
	ds_read_b64 v[8:9], v0
	s_andn2_b32 s29, s29, exec_lo
	s_mov_b32 s28, 0
	s_waitcnt lgkmcnt(0)
	flat_load_dword v2, v[8:9] glc dlc
	s_waitcnt vmcnt(0) lgkmcnt(0)
	buffer_gl1_inv
	buffer_gl0_inv
	v_cmp_eq_u32_e32 vcc_lo, 0, v2
	s_and_b32 s78, vcc_lo, exec_lo
	s_or_b32 s29, s29, s78
	s_mov_b32 s79, -1
	s_or_b32 s27, s27, exec_lo
	s_and_saveexec_b32 s78, s29
	s_cbranch_execz .LBB2_687
.LBB2_691:                              ;   in Loop: Header=BB2_688 Depth=3
	s_sleep 1
	s_trap 2
	ds_read_b64 v[8:9], v0
	s_waitcnt lgkmcnt(0)
	buffer_gl0_inv
	s_andn2_b32 s27, s27, exec_lo
	v_cmp_ge_u64_e32 vcc_lo, v[8:9], v[12:13]
	s_orn2_b32 s79, vcc_lo, exec_lo
	s_branch .LBB2_687
.LBB2_692:                              ;   in Loop: Header=BB2_499 Depth=2
	s_inst_prefetch 0x2
	s_or_b32 exec_lo, exec_lo, s22
	s_and_saveexec_b32 s22, s26
	s_xor_b32 s22, exec_lo, s22
	s_cbranch_execz .LBB2_694
; %bb.693:                              ;   in Loop: Header=BB2_499 Depth=2
	ds_write_b32 v0, v101
	s_trap 2
.LBB2_694:                              ;   in Loop: Header=BB2_499 Depth=2
	s_or_b32 exec_lo, exec_lo, s20
	;;#ASMSTART
	s_wakeup
	;;#ASMEND
.LBB2_695:                              ;   in Loop: Header=BB2_499 Depth=2
	s_or_b32 exec_lo, exec_lo, s19
.LBB2_696:                              ;   in Loop: Header=BB2_499 Depth=2
	s_andn2_saveexec_b32 s18, s18
	s_cbranch_execz .LBB2_698
; %bb.697:                              ;   in Loop: Header=BB2_499 Depth=2
	s_waitcnt vmcnt(0) lgkmcnt(0)
	s_waitcnt_vscnt null, 0x0
	buffer_gl1_inv
	buffer_gl0_inv
	s_barrier
.LBB2_698:                              ;   in Loop: Header=BB2_499 Depth=2
	s_or_b32 exec_lo, exec_lo, s18
	s_or_b32 exec_lo, exec_lo, s17
                                        ; implicit-def: $vgpr2
	s_and_saveexec_b32 s17, s15
	s_xor_b32 s17, exec_lo, s17
	s_cbranch_execnz .LBB2_577
.LBB2_699:                              ;   in Loop: Header=BB2_499 Depth=2
	s_andn2_saveexec_b32 s16, s17
	s_cbranch_execz .LBB2_718
.LBB2_700:                              ;   in Loop: Header=BB2_499 Depth=2
	s_and_saveexec_b32 s17, s44
	s_xor_b32 s17, exec_lo, s17
	s_cbranch_execz .LBB2_715
; %bb.701:                              ;   in Loop: Header=BB2_499 Depth=2
	s_and_saveexec_b32 s18, s11
	s_cbranch_execz .LBB2_714
; %bb.702:                              ;   in Loop: Header=BB2_499 Depth=2
	s_mov_b32 s20, exec_lo
	s_mov_b32 s19, exec_lo
	v_mbcnt_lo_u32_b32 v2, s20, 0
	;;#ASMSTART
	s_waitcnt lgkmcnt(0) vmcnt(0)
	;;#ASMEND
	v_cmpx_eq_u32_e32 0, v2
	s_cbranch_execz .LBB2_704
; %bb.703:                              ;   in Loop: Header=BB2_499 Depth=2
	s_bcnt1_i32_b32 s20, s20
	v_mov_b32_e32 v2, s20
	s_waitcnt vmcnt(0) lgkmcnt(0)
	s_waitcnt_vscnt null, 0x0
	ds_add_u64 v0, v[2:3]
	s_trap 2
.LBB2_704:                              ;   in Loop: Header=BB2_499 Depth=2
	s_or_b32 exec_lo, exec_lo, s19
	s_trap 2
	ds_read_b64 v[8:9], v0
	s_waitcnt vmcnt(0) lgkmcnt(0)
	buffer_gl0_inv
	v_add_co_u32 v12, vcc_lo, v12, v97
	v_add_co_ci_u32_e64 v13, null, 0, v13, vcc_lo
	s_mov_b32 s19, exec_lo
	v_cmpx_lt_u64_e64 v[8:9], v[12:13]
	s_cbranch_execz .LBB2_713
; %bb.705:                              ;   in Loop: Header=BB2_499 Depth=2
	s_mov_b32 s20, 0
	s_mov_b32 s27, 0
                                        ; implicit-def: $sgpr22
                                        ; implicit-def: $sgpr26
	s_inst_prefetch 0x1
	s_branch .LBB2_707
	.p2align	6
.LBB2_706:                              ;   in Loop: Header=BB2_707 Depth=3
	s_or_b32 exec_lo, exec_lo, s29
	s_and_b32 s28, exec_lo, s78
	s_or_b32 s20, s28, s20
	s_andn2_b32 s22, s22, exec_lo
	s_and_b32 s28, s26, exec_lo
	s_or_b32 s22, s22, s28
	s_andn2_b32 exec_lo, exec_lo, s20
	s_cbranch_execz .LBB2_711
.LBB2_707:                              ;   Parent Loop BB2_47 Depth=1
                                        ;     Parent Loop BB2_499 Depth=2
                                        ; =>    This Inner Loop Header: Depth=3
	s_add_i32 s27, s27, 1
	s_cmpk_lg_i32 s27, 0x2710
	s_cselect_b32 s28, -1, 0
	s_and_b32 vcc_lo, exec_lo, s28
	s_cbranch_vccz .LBB2_709
; %bb.708:                              ;   in Loop: Header=BB2_707 Depth=3
	s_mov_b32 s78, -1
	s_or_b32 s26, s26, exec_lo
	s_and_saveexec_b32 s29, s28
	s_cbranch_execz .LBB2_706
	s_branch .LBB2_710
	.p2align	6
.LBB2_709:                              ;   in Loop: Header=BB2_707 Depth=3
	s_trap 2
	ds_read_b64 v[8:9], v0
	s_andn2_b32 s28, s28, exec_lo
	s_mov_b32 s27, 0
	s_waitcnt lgkmcnt(0)
	s_waitcnt_vscnt null, 0x0
	flat_load_dword v2, v[8:9] glc dlc
	s_waitcnt vmcnt(0) lgkmcnt(0)
	buffer_gl1_inv
	buffer_gl0_inv
	v_cmp_eq_u32_e32 vcc_lo, 0, v2
	s_and_b32 s29, vcc_lo, exec_lo
	s_or_b32 s28, s28, s29
	s_mov_b32 s78, -1
	s_or_b32 s26, s26, exec_lo
	s_and_saveexec_b32 s29, s28
	s_cbranch_execz .LBB2_706
.LBB2_710:                              ;   in Loop: Header=BB2_707 Depth=3
	s_sleep 1
	s_trap 2
	ds_read_b64 v[8:9], v0
	s_waitcnt lgkmcnt(0)
	buffer_gl0_inv
	s_andn2_b32 s26, s26, exec_lo
	v_cmp_ge_u64_e32 vcc_lo, v[8:9], v[12:13]
	s_orn2_b32 s78, vcc_lo, exec_lo
	s_branch .LBB2_706
.LBB2_711:                              ;   in Loop: Header=BB2_499 Depth=2
	s_inst_prefetch 0x2
	s_or_b32 exec_lo, exec_lo, s20
	s_and_saveexec_b32 s20, s22
	s_xor_b32 s20, exec_lo, s20
	s_cbranch_execz .LBB2_713
; %bb.712:                              ;   in Loop: Header=BB2_499 Depth=2
	ds_write_b32 v0, v101
	s_trap 2
.LBB2_713:                              ;   in Loop: Header=BB2_499 Depth=2
	s_or_b32 exec_lo, exec_lo, s19
	;;#ASMSTART
	s_wakeup
	;;#ASMEND
.LBB2_714:                              ;   in Loop: Header=BB2_499 Depth=2
	s_or_b32 exec_lo, exec_lo, s18
.LBB2_715:                              ;   in Loop: Header=BB2_499 Depth=2
	s_andn2_saveexec_b32 s17, s17
	s_cbranch_execz .LBB2_717
; %bb.716:                              ;   in Loop: Header=BB2_499 Depth=2
	;;#ASMSTART
	s_waitcnt lgkmcnt(0) vmcnt(0)
	;;#ASMEND
	s_barrier
.LBB2_717:                              ;   in Loop: Header=BB2_499 Depth=2
	s_or_b32 exec_lo, exec_lo, s17
	v_and_b32_e32 v2, 16, v87
.LBB2_718:                              ;   in Loop: Header=BB2_499 Depth=2
	s_or_b32 exec_lo, exec_lo, s16
	v_cmp_ne_u32_e32 vcc_lo, 0, v2
	s_xor_b32 s16, s7, -1
	s_and_b32 s17, vcc_lo, s16
	s_and_saveexec_b32 s16, s17
	s_cbranch_execz .LBB2_720
; %bb.719:                              ;   in Loop: Header=BB2_499 Depth=2
	s_waitcnt vmcnt(0) lgkmcnt(0)
	s_waitcnt_vscnt null, 0x0
	flat_store_dword v[24:25], v101
.LBB2_720:                              ;   in Loop: Header=BB2_499 Depth=2
	s_or_b32 exec_lo, exec_lo, s16
	v_and_b32_e32 v2, 48, v87
	s_mov_b32 s16, exec_lo
	v_cmpx_ne_u32_e32 0, v2
	s_cbranch_execz .LBB2_498
; %bb.721:                              ;   in Loop: Header=BB2_499 Depth=2
	v_add_co_u32 v38, vcc_lo, v38, 2
	v_add_co_ci_u32_e64 v39, null, 0, v39, vcc_lo
	s_waitcnt vmcnt(0) lgkmcnt(0)
	s_waitcnt_vscnt null, 0x0
	flat_store_dwordx2 v[20:21], v[38:39]
	s_branch .LBB2_498
.LBB2_722:                              ;   in Loop: Header=BB2_47 Depth=1
	s_or_b32 exec_lo, exec_lo, s75
.LBB2_723:                              ;   in Loop: Header=BB2_47 Depth=1
	s_or_b32 exec_lo, exec_lo, s25
	s_mov_b32 s17, exec_lo
	v_cmpx_gt_i32_e32 2, v2
	s_cbranch_execz .LBB2_797
; %bb.724:                              ;   in Loop: Header=BB2_47 Depth=1
	v_cmp_eq_u32_e64 s19, 0, v2
	s_mov_b32 s18, 0
	s_branch .LBB2_726
.LBB2_725:                              ;   in Loop: Header=BB2_726 Depth=2
	s_or_b32 exec_lo, exec_lo, s16
	v_add_nc_u32_e32 v54, v52, v54
	s_mov_b32 s19, 0
	s_andn2_b32 exec_lo, exec_lo, s18
	s_cbranch_execz .LBB2_796
.LBB2_726:                              ;   Parent Loop BB2_47 Depth=1
                                        ; =>  This Loop Header: Depth=2
                                        ;       Child Loop BB2_732 Depth 3
                                        ;       Child Loop BB2_758 Depth 3
	;; [unrolled: 1-line block ×3, first 2 shown]
	v_sub_nc_u32_e32 v2, v56, v54
	v_and_b32_e32 v8, 12, v87
	s_mov_b32 s20, exec_lo
	v_min_i32_e32 v52, v52, v2
	v_cmpx_ne_u32_e32 0, v8
	s_cbranch_execz .LBB2_750
; %bb.727:                              ;   in Loop: Header=BB2_726 Depth=2
	v_and_b32_e32 v2, 8, v87
	s_mov_b32 s22, exec_lo
	s_waitcnt vmcnt(0) lgkmcnt(1)
	v_add_co_u32 v10, vcc_lo, v26, v2
	v_add_co_ci_u32_e64 v11, null, 0, v27, vcc_lo
	v_add_co_u32 v8, vcc_lo, v38, 2
	v_add_co_ci_u32_e64 v9, null, 0, v39, vcc_lo
	v_cmpx_lt_u64_e64 v[10:11], v[8:9]
	s_cbranch_execz .LBB2_739
; %bb.728:                              ;   in Loop: Header=BB2_726 Depth=2
	v_and_b32_e32 v10, 64, v87
	s_mov_b32 s25, 0
	s_mov_b32 s29, 0
                                        ; implicit-def: $sgpr26
                                        ; implicit-def: $sgpr27
                                        ; implicit-def: $sgpr28
	v_cmp_eq_u32_e32 vcc_lo, 0, v10
	s_branch .LBB2_732
.LBB2_729:                              ;   in Loop: Header=BB2_732 Depth=3
	s_waitcnt vmcnt(0) lgkmcnt(0)
	v_add_co_u32 v64, s16, v26, v2
	v_add_co_ci_u32_e64 v65, null, 0, v27, s16
	s_or_b32 s77, s77, exec_lo
	v_cmp_ge_u64_e64 s16, v[64:65], v[8:9]
	s_orn2_b32 s76, s16, exec_lo
.LBB2_730:                              ;   in Loop: Header=BB2_732 Depth=3
	s_or_b32 exec_lo, exec_lo, s79
	s_andn2_b32 s16, s28, exec_lo
	s_and_b32 s28, s77, exec_lo
	s_andn2_b32 s27, s27, exec_lo
	s_and_b32 s76, s76, exec_lo
	s_or_b32 s28, s16, s28
	s_or_b32 s27, s27, s76
.LBB2_731:                              ;   in Loop: Header=BB2_732 Depth=3
	s_or_b32 exec_lo, exec_lo, s75
	s_and_b32 s16, exec_lo, s27
	s_or_b32 s25, s16, s25
	s_andn2_b32 s16, s26, exec_lo
	s_and_b32 s26, s28, exec_lo
	s_or_b32 s26, s16, s26
	s_andn2_b32 exec_lo, exec_lo, s25
	s_cbranch_execz .LBB2_736
.LBB2_732:                              ;   Parent Loop BB2_47 Depth=1
                                        ;     Parent Loop BB2_726 Depth=2
                                        ; =>    This Inner Loop Header: Depth=3
	s_sleep 1
	s_waitcnt vmcnt(0) lgkmcnt(0)
	flat_load_dwordx2 v[26:27], v[20:21] glc dlc
	s_or_b32 s28, s28, exec_lo
	s_or_b32 s27, s27, exec_lo
                                        ; implicit-def: $vgpr10
	s_and_saveexec_b32 s75, vcc_lo
	s_cbranch_execz .LBB2_731
; %bb.733:                              ;   in Loop: Header=BB2_732 Depth=3
	s_cmpk_lt_i32 s29, 0x270f
	s_mov_b32 s76, -1
	s_cselect_b32 s78, -1, 0
	s_cmpk_gt_i32 s29, 0x270e
	s_cbranch_scc0 .LBB2_735
; %bb.734:                              ;   in Loop: Header=BB2_732 Depth=3
	s_trap 2
	ds_read_b64 v[10:11], v0
	s_andn2_b32 s29, s78, exec_lo
	s_mov_b32 s77, 0
	s_waitcnt vmcnt(0) lgkmcnt(0)
	s_waitcnt_vscnt null, 0x0
	flat_load_dword v10, v[10:11] glc dlc
	s_waitcnt vmcnt(0) lgkmcnt(0)
	buffer_gl1_inv
	buffer_gl0_inv
	v_cmp_eq_u32_e64 s16, 0, v10
	s_and_b32 s16, s16, exec_lo
	s_or_b32 s78, s29, s16
	s_mov_b32 s29, 0
	s_and_saveexec_b32 s79, s78
	s_cbranch_execz .LBB2_730
	s_branch .LBB2_729
.LBB2_735:                              ;   in Loop: Header=BB2_732 Depth=3
	s_add_i32 s29, s29, 1
	s_mov_b32 s77, -1
                                        ; implicit-def: $vgpr10
	s_and_saveexec_b32 s79, s78
	s_cbranch_execz .LBB2_730
	s_branch .LBB2_729
.LBB2_736:                              ;   in Loop: Header=BB2_726 Depth=2
	s_or_b32 exec_lo, exec_lo, s25
	s_xor_b32 s16, s26, -1
	s_and_saveexec_b32 s25, s16
	s_xor_b32 s16, exec_lo, s25
	s_cbranch_execz .LBB2_738
; %bb.737:                              ;   in Loop: Header=BB2_726 Depth=2
	v_or_b32_e32 v87, 64, v87
	s_waitcnt vmcnt(0) lgkmcnt(0)
	s_waitcnt_vscnt null, 0x0
	ds_write_b32 v0, v10
	s_trap 2
.LBB2_738:                              ;   in Loop: Header=BB2_726 Depth=2
	s_or_b32 exec_lo, exec_lo, s16
.LBB2_739:                              ;   in Loop: Header=BB2_726 Depth=2
	s_or_b32 exec_lo, exec_lo, s22
	v_and_b32_e32 v10, 0x108, v87
	v_and_b32_e32 v55, 7, v38
	s_mov_b32 s16, exec_lo
	;;#ASMSTART
	s_wakeup
	;;#ASMEND
	v_cmpx_ne_u32_e32 0x108, v10
	s_xor_b32 s16, exec_lo, s16
	s_andn2_saveexec_b32 s16, s16
	s_cbranch_execz .LBB2_741
; %bb.740:                              ;   in Loop: Header=BB2_726 Depth=2
	v_ashrrev_i32_e32 v53, 31, v52
	v_mad_u64_u32 v[10:11], null, v55, 24, v[6:7]
	v_lshlrev_b64 v[38:39], 3, v[52:53]
	flat_store_dwordx2 v[10:11], v[38:39] offset:8
.LBB2_741:                              ;   in Loop: Header=BB2_726 Depth=2
	s_or_b32 exec_lo, exec_lo, s16
	v_and_b32_e32 v10, 0x100, v87
	s_mov_b32 s16, -1
	v_cmp_ne_u32_e32 vcc_lo, 0, v10
                                        ; implicit-def: $vgpr10_vgpr11
	s_and_saveexec_b32 s22, vcc_lo
	s_cbranch_execz .LBB2_745
; %bb.742:                              ;   in Loop: Header=BB2_726 Depth=2
	v_mad_u64_u32 v[38:39], null, v55, 24, v[6:7]
	v_mov_b32_e32 v10, v39
	v_mad_u64_u32 v[10:11], null, v3, 24, v[10:11]
	v_mov_b32_e32 v39, v10
	flat_load_dword v10, v[38:39]
	s_waitcnt vmcnt(0) lgkmcnt(0)
	v_cmp_eq_u32_e64 s16, 1, v10
	v_cmp_ne_u32_e32 vcc_lo, 1, v10
                                        ; implicit-def: $vgpr10_vgpr11
	s_and_saveexec_b32 s25, s16
	s_cbranch_execz .LBB2_744
; %bb.743:                              ;   in Loop: Header=BB2_726 Depth=2
	flat_load_dword v10, v[38:39] offset:4 glc dlc
	s_waitcnt vmcnt(0) lgkmcnt(0)
	v_ashrrev_i32_e32 v11, 31, v10
	v_lshrrev_b64 v[10:11], 3, v[10:11]
.LBB2_744:                              ;   in Loop: Header=BB2_726 Depth=2
	s_or_b32 exec_lo, exec_lo, s25
	s_orn2_b32 s16, vcc_lo, exec_lo
.LBB2_745:                              ;   in Loop: Header=BB2_726 Depth=2
	s_or_b32 exec_lo, exec_lo, s22
	s_and_saveexec_b32 s22, s16
; %bb.746:                              ;   in Loop: Header=BB2_726 Depth=2
	v_mul_lo_u32 v38, v3, v96
	v_mul_lo_u32 v39, v55, v30
	v_mad_u64_u32 v[10:11], null, v55, v96, 0
	v_add3_u32 v11, v11, v39, v38
; %bb.747:                              ;   in Loop: Header=BB2_726 Depth=2
	s_or_b32 exec_lo, exec_lo, s22
	v_cmp_eq_u32_e32 vcc_lo, 0, v2
	v_lshlrev_b64 v[10:11], 3, v[10:11]
	v_and_b32_e32 v38, 0x2000, v87
	s_mov_b32 s16, exec_lo
	v_cndmask_b32_e32 v2, 0xd0, v102, vcc_lo
	v_add_co_u32 v10, vcc_lo, v22, v10
	v_add_co_ci_u32_e64 v11, null, v23, v11, vcc_lo
	v_add_nc_u32_e32 v2, v0, v2
	ds_write_b64 v2, v[10:11] offset:584
	v_cmpx_ne_u32_e32 0, v38
	s_cbranch_execz .LBB2_749
; %bb.748:                              ;   in Loop: Header=BB2_726 Depth=2
	ds_read_b64 v[10:11], v0 offset:872
	s_waitcnt lgkmcnt(0)
	v_add_co_u32 v10, vcc_lo, v10, 1
	v_add_co_ci_u32_e64 v11, null, 0, v11, vcc_lo
	ds_write_b64 v0, v[10:11] offset:872
.LBB2_749:                              ;   in Loop: Header=BB2_726 Depth=2
	s_or_b32 exec_lo, exec_lo, s16
	v_mov_b32_e32 v39, v9
	v_mov_b32_e32 v38, v8
.LBB2_750:                              ;   in Loop: Header=BB2_726 Depth=2
	s_or_b32 exec_lo, exec_lo, s20
	s_xor_b32 s16, s19, -1
	s_and_b32 s16, exec_lo, s16
	s_or_b32 s18, s16, s18
	s_and_saveexec_b32 s16, s6
	s_cbranch_execz .LBB2_769
; %bb.751:                              ;   in Loop: Header=BB2_726 Depth=2
	s_and_saveexec_b32 s19, s44
	s_xor_b32 s19, exec_lo, s19
	s_cbranch_execz .LBB2_766
; %bb.752:                              ;   in Loop: Header=BB2_726 Depth=2
	s_and_saveexec_b32 s20, s11
	s_cbranch_execz .LBB2_765
; %bb.753:                              ;   in Loop: Header=BB2_726 Depth=2
	s_mov_b32 s25, exec_lo
	s_mov_b32 s22, exec_lo
	v_mbcnt_lo_u32_b32 v2, s25, 0
	s_waitcnt vmcnt(0) lgkmcnt(0)
	s_waitcnt_vscnt null, 0x0
	buffer_gl1_inv
	buffer_gl0_inv
	v_cmpx_eq_u32_e32 0, v2
	s_cbranch_execz .LBB2_755
; %bb.754:                              ;   in Loop: Header=BB2_726 Depth=2
	s_bcnt1_i32_b32 s25, s25
	v_mov_b32_e32 v2, s25
	ds_add_u64 v0, v[2:3]
	s_trap 2
.LBB2_755:                              ;   in Loop: Header=BB2_726 Depth=2
	s_or_b32 exec_lo, exec_lo, s22
	s_trap 2
	ds_read_b64 v[8:9], v0
	s_waitcnt lgkmcnt(0)
	buffer_gl0_inv
	v_add_co_u32 v12, vcc_lo, v12, v97
	v_add_co_ci_u32_e64 v13, null, 0, v13, vcc_lo
	s_mov_b32 s22, exec_lo
	v_cmpx_lt_u64_e64 v[8:9], v[12:13]
	s_cbranch_execz .LBB2_764
; %bb.756:                              ;   in Loop: Header=BB2_726 Depth=2
	s_mov_b32 s25, 0
	s_mov_b32 s28, 0
                                        ; implicit-def: $sgpr26
                                        ; implicit-def: $sgpr27
	s_inst_prefetch 0x1
	s_branch .LBB2_758
	.p2align	6
.LBB2_757:                              ;   in Loop: Header=BB2_758 Depth=3
	s_or_b32 exec_lo, exec_lo, s75
	s_and_b32 s29, exec_lo, s76
	s_or_b32 s25, s29, s25
	s_andn2_b32 s26, s26, exec_lo
	s_and_b32 s29, s27, exec_lo
	s_or_b32 s26, s26, s29
	s_andn2_b32 exec_lo, exec_lo, s25
	s_cbranch_execz .LBB2_762
.LBB2_758:                              ;   Parent Loop BB2_47 Depth=1
                                        ;     Parent Loop BB2_726 Depth=2
                                        ; =>    This Inner Loop Header: Depth=3
	s_add_i32 s28, s28, 1
	s_cmpk_lg_i32 s28, 0x2710
	s_cselect_b32 s29, -1, 0
	s_and_b32 vcc_lo, exec_lo, s29
	s_cbranch_vccz .LBB2_760
; %bb.759:                              ;   in Loop: Header=BB2_758 Depth=3
	s_mov_b32 s76, -1
	s_or_b32 s27, s27, exec_lo
	s_and_saveexec_b32 s75, s29
	s_cbranch_execz .LBB2_757
	s_branch .LBB2_761
	.p2align	6
.LBB2_760:                              ;   in Loop: Header=BB2_758 Depth=3
	s_trap 2
	ds_read_b64 v[8:9], v0
	s_andn2_b32 s29, s29, exec_lo
	s_mov_b32 s28, 0
	s_waitcnt lgkmcnt(0)
	flat_load_dword v2, v[8:9] glc dlc
	s_waitcnt vmcnt(0) lgkmcnt(0)
	buffer_gl1_inv
	buffer_gl0_inv
	v_cmp_eq_u32_e32 vcc_lo, 0, v2
	s_and_b32 s75, vcc_lo, exec_lo
	s_or_b32 s29, s29, s75
	s_mov_b32 s76, -1
	s_or_b32 s27, s27, exec_lo
	s_and_saveexec_b32 s75, s29
	s_cbranch_execz .LBB2_757
.LBB2_761:                              ;   in Loop: Header=BB2_758 Depth=3
	s_sleep 1
	s_trap 2
	ds_read_b64 v[8:9], v0
	s_waitcnt lgkmcnt(0)
	buffer_gl0_inv
	s_andn2_b32 s27, s27, exec_lo
	v_cmp_ge_u64_e32 vcc_lo, v[8:9], v[12:13]
	s_orn2_b32 s76, vcc_lo, exec_lo
	s_branch .LBB2_757
.LBB2_762:                              ;   in Loop: Header=BB2_726 Depth=2
	s_inst_prefetch 0x2
	s_or_b32 exec_lo, exec_lo, s25
	s_and_saveexec_b32 s25, s26
	s_xor_b32 s25, exec_lo, s25
	s_cbranch_execz .LBB2_764
; %bb.763:                              ;   in Loop: Header=BB2_726 Depth=2
	ds_write_b32 v0, v101
	s_trap 2
.LBB2_764:                              ;   in Loop: Header=BB2_726 Depth=2
	s_or_b32 exec_lo, exec_lo, s22
	;;#ASMSTART
	s_wakeup
	;;#ASMEND
.LBB2_765:                              ;   in Loop: Header=BB2_726 Depth=2
	s_or_b32 exec_lo, exec_lo, s20
.LBB2_766:                              ;   in Loop: Header=BB2_726 Depth=2
	s_andn2_saveexec_b32 s19, s19
	s_cbranch_execz .LBB2_768
; %bb.767:                              ;   in Loop: Header=BB2_726 Depth=2
	s_waitcnt vmcnt(0) lgkmcnt(0)
	s_waitcnt_vscnt null, 0x0
	buffer_gl1_inv
	buffer_gl0_inv
	s_barrier
.LBB2_768:                              ;   in Loop: Header=BB2_726 Depth=2
	s_or_b32 exec_lo, exec_lo, s19
.LBB2_769:                              ;   in Loop: Header=BB2_726 Depth=2
	s_or_b32 exec_lo, exec_lo, s16
                                        ; implicit-def: $vgpr2
	s_and_saveexec_b32 s16, s15
	s_xor_b32 s19, exec_lo, s16
	s_cbranch_execz .LBB2_773
; %bb.770:                              ;   in Loop: Header=BB2_726 Depth=2
	s_trap 2
	ds_read_b32 v2, v0
	v_cmp_lt_i32_e32 vcc_lo, 0, v52
	s_waitcnt lgkmcnt(0)
	v_readfirstlane_b32 s16, v2
	v_and_b32_e32 v2, 16, v87
	s_cmp_eq_u32 s16, 0
	v_cmp_ne_u32_e64 s16, 0, v2
	s_cselect_b32 s20, -1, 0
	v_and_b32_e32 v2, 16, v87
	s_and_b32 s20, vcc_lo, s20
	s_and_b32 s20, s16, s20
	s_and_saveexec_b32 s16, s20
	s_cbranch_execz .LBB2_772
; %bb.771:                              ;   in Loop: Header=BB2_726 Depth=2
	v_mov_b32_e32 v2, 1
	s_waitcnt vmcnt(0)
	s_waitcnt_vscnt null, 0x0
	buffer_gl1_inv
	buffer_gl0_inv
.LBB2_772:                              ;   in Loop: Header=BB2_726 Depth=2
	s_or_b32 exec_lo, exec_lo, s16
	s_andn2_saveexec_b32 s16, s19
	s_cbranch_execz .LBB2_792
	s_branch .LBB2_774
.LBB2_773:                              ;   in Loop: Header=BB2_726 Depth=2
	s_andn2_saveexec_b32 s16, s19
	s_cbranch_execz .LBB2_792
.LBB2_774:                              ;   in Loop: Header=BB2_726 Depth=2
	s_and_saveexec_b32 s19, s44
	s_xor_b32 s19, exec_lo, s19
	s_cbranch_execz .LBB2_789
; %bb.775:                              ;   in Loop: Header=BB2_726 Depth=2
	s_and_saveexec_b32 s20, s11
	s_cbranch_execz .LBB2_788
; %bb.776:                              ;   in Loop: Header=BB2_726 Depth=2
	s_mov_b32 s25, exec_lo
	s_mov_b32 s22, exec_lo
	v_mbcnt_lo_u32_b32 v2, s25, 0
	;;#ASMSTART
	s_waitcnt lgkmcnt(0) vmcnt(0)
	;;#ASMEND
	v_cmpx_eq_u32_e32 0, v2
	s_cbranch_execz .LBB2_778
; %bb.777:                              ;   in Loop: Header=BB2_726 Depth=2
	s_bcnt1_i32_b32 s25, s25
	v_mov_b32_e32 v2, s25
	s_waitcnt vmcnt(0) lgkmcnt(0)
	s_waitcnt_vscnt null, 0x0
	ds_add_u64 v0, v[2:3]
	s_trap 2
.LBB2_778:                              ;   in Loop: Header=BB2_726 Depth=2
	s_or_b32 exec_lo, exec_lo, s22
	s_trap 2
	ds_read_b64 v[8:9], v0
	s_waitcnt vmcnt(0) lgkmcnt(0)
	buffer_gl0_inv
	v_add_co_u32 v12, vcc_lo, v12, v97
	v_add_co_ci_u32_e64 v13, null, 0, v13, vcc_lo
	s_mov_b32 s22, exec_lo
	v_cmpx_lt_u64_e64 v[8:9], v[12:13]
	s_cbranch_execz .LBB2_787
; %bb.779:                              ;   in Loop: Header=BB2_726 Depth=2
	s_mov_b32 s25, 0
	s_mov_b32 s28, 0
                                        ; implicit-def: $sgpr26
                                        ; implicit-def: $sgpr27
	s_inst_prefetch 0x1
	s_branch .LBB2_781
	.p2align	6
.LBB2_780:                              ;   in Loop: Header=BB2_781 Depth=3
	s_or_b32 exec_lo, exec_lo, s75
	s_and_b32 s29, exec_lo, s76
	s_or_b32 s25, s29, s25
	s_andn2_b32 s26, s26, exec_lo
	s_and_b32 s29, s27, exec_lo
	s_or_b32 s26, s26, s29
	s_andn2_b32 exec_lo, exec_lo, s25
	s_cbranch_execz .LBB2_785
.LBB2_781:                              ;   Parent Loop BB2_47 Depth=1
                                        ;     Parent Loop BB2_726 Depth=2
                                        ; =>    This Inner Loop Header: Depth=3
	s_add_i32 s28, s28, 1
	s_cmpk_lg_i32 s28, 0x2710
	s_cselect_b32 s29, -1, 0
	s_and_b32 vcc_lo, exec_lo, s29
	s_cbranch_vccz .LBB2_783
; %bb.782:                              ;   in Loop: Header=BB2_781 Depth=3
	s_mov_b32 s76, -1
	s_or_b32 s27, s27, exec_lo
	s_and_saveexec_b32 s75, s29
	s_cbranch_execz .LBB2_780
	s_branch .LBB2_784
	.p2align	6
.LBB2_783:                              ;   in Loop: Header=BB2_781 Depth=3
	s_trap 2
	ds_read_b64 v[8:9], v0
	s_andn2_b32 s29, s29, exec_lo
	s_mov_b32 s28, 0
	s_waitcnt lgkmcnt(0)
	s_waitcnt_vscnt null, 0x0
	flat_load_dword v2, v[8:9] glc dlc
	s_waitcnt vmcnt(0) lgkmcnt(0)
	buffer_gl1_inv
	buffer_gl0_inv
	v_cmp_eq_u32_e32 vcc_lo, 0, v2
	s_and_b32 s75, vcc_lo, exec_lo
	s_or_b32 s29, s29, s75
	s_mov_b32 s76, -1
	s_or_b32 s27, s27, exec_lo
	s_and_saveexec_b32 s75, s29
	s_cbranch_execz .LBB2_780
.LBB2_784:                              ;   in Loop: Header=BB2_781 Depth=3
	s_sleep 1
	s_trap 2
	ds_read_b64 v[8:9], v0
	s_waitcnt lgkmcnt(0)
	buffer_gl0_inv
	s_andn2_b32 s27, s27, exec_lo
	v_cmp_ge_u64_e32 vcc_lo, v[8:9], v[12:13]
	s_orn2_b32 s76, vcc_lo, exec_lo
	s_branch .LBB2_780
.LBB2_785:                              ;   in Loop: Header=BB2_726 Depth=2
	s_inst_prefetch 0x2
	s_or_b32 exec_lo, exec_lo, s25
	s_and_saveexec_b32 s25, s26
	s_xor_b32 s25, exec_lo, s25
	s_cbranch_execz .LBB2_787
; %bb.786:                              ;   in Loop: Header=BB2_726 Depth=2
	ds_write_b32 v0, v101
	s_trap 2
.LBB2_787:                              ;   in Loop: Header=BB2_726 Depth=2
	s_or_b32 exec_lo, exec_lo, s22
	;;#ASMSTART
	s_wakeup
	;;#ASMEND
.LBB2_788:                              ;   in Loop: Header=BB2_726 Depth=2
	s_or_b32 exec_lo, exec_lo, s20
.LBB2_789:                              ;   in Loop: Header=BB2_726 Depth=2
	s_andn2_saveexec_b32 s19, s19
	s_cbranch_execz .LBB2_791
; %bb.790:                              ;   in Loop: Header=BB2_726 Depth=2
	;;#ASMSTART
	s_waitcnt lgkmcnt(0) vmcnt(0)
	;;#ASMEND
	s_barrier
.LBB2_791:                              ;   in Loop: Header=BB2_726 Depth=2
	s_or_b32 exec_lo, exec_lo, s19
	v_and_b32_e32 v2, 16, v87
.LBB2_792:                              ;   in Loop: Header=BB2_726 Depth=2
	s_or_b32 exec_lo, exec_lo, s16
	v_cmp_ne_u32_e32 vcc_lo, 0, v2
	s_xor_b32 s16, s7, -1
	s_and_b32 s19, vcc_lo, s16
	s_and_saveexec_b32 s16, s19
	s_cbranch_execz .LBB2_794
; %bb.793:                              ;   in Loop: Header=BB2_726 Depth=2
	s_waitcnt vmcnt(0) lgkmcnt(0)
	s_waitcnt_vscnt null, 0x0
	flat_store_dword v[24:25], v101
.LBB2_794:                              ;   in Loop: Header=BB2_726 Depth=2
	s_or_b32 exec_lo, exec_lo, s16
	v_and_b32_e32 v2, 48, v87
	s_mov_b32 s16, exec_lo
	v_cmpx_ne_u32_e32 0, v2
	s_cbranch_execz .LBB2_725
; %bb.795:                              ;   in Loop: Header=BB2_726 Depth=2
	v_add_co_u32 v38, vcc_lo, v38, 2
	v_add_co_ci_u32_e64 v39, null, 0, v39, vcc_lo
	s_waitcnt vmcnt(0) lgkmcnt(0)
	s_waitcnt_vscnt null, 0x0
	flat_store_dwordx2 v[20:21], v[38:39]
	s_branch .LBB2_725
.LBB2_796:                              ;   in Loop: Header=BB2_47 Depth=1
	s_or_b32 exec_lo, exec_lo, s18
.LBB2_797:                              ;   in Loop: Header=BB2_47 Depth=1
	s_or_b32 exec_lo, exec_lo, s17
	s_andn2_b32 vcc_lo, exec_lo, s59
	s_cbranch_vccnz .LBB2_1062
; %bb.798:                              ;   in Loop: Header=BB2_47 Depth=1
	s_mov_b32 s20, 1
.LBB2_799:                              ;   Parent Loop BB2_47 Depth=1
                                        ; =>  This Loop Header: Depth=2
                                        ;       Child Loop BB2_802 Depth 3
                                        ;         Child Loop BB2_810 Depth 4
                                        ;         Child Loop BB2_838 Depth 4
	;; [unrolled: 1-line block ×4, first 2 shown]
                                        ;           Child Loop BB2_885 Depth 5
                                        ;         Child Loop BB2_891 Depth 4
                                        ;           Child Loop BB2_892 Depth 5
                                        ;         Child Loop BB2_901 Depth 4
                                        ;           Child Loop BB2_902 Depth 5
                                        ;         Child Loop BB2_908 Depth 4
                                        ;           Child Loop BB2_909 Depth 5
                                        ;         Child Loop BB2_921 Depth 4
                                        ;         Child Loop BB2_926 Depth 4
                                        ;         Child Loop BB2_934 Depth 4
	;; [unrolled: 1-line block ×5, first 2 shown]
                                        ;       Child Loop BB2_987 Depth 3
                                        ;         Child Loop BB2_993 Depth 4
                                        ;         Child Loop BB2_1021 Depth 4
	;; [unrolled: 1-line block ×3, first 2 shown]
	s_sub_i32 s16, s47, s20
	v_mov_b32_e32 v54, 0
	s_cmp_ge_i32 s16, s41
	s_mov_b32 s25, 0
	s_cselect_b32 s17, s41, 0
	s_sub_i32 s16, s16, s17
	s_ashr_i32 s17, s16, 31
	v_mul_lo_u32 v2, v37, s16
	v_mad_u64_u32 v[8:9], null, v36, s16, 0
	v_mul_lo_u32 v10, v36, s17
	v_add3_u32 v9, v9, v10, v2
	v_sub_co_u32 v10, vcc_lo, v48, v8
	v_sub_co_ci_u32_e64 v11, null, v49, v9, vcc_lo
	v_cmp_lt_i64_e32 vcc_lo, v[36:37], v[10:11]
	v_cndmask_b32_e32 v10, v10, v36, vcc_lo
	v_max_i32_e32 v82, 0, v10
	v_cmp_lt_i32_e32 vcc_lo, 0, v10
	v_add_nc_u32_e32 v2, 31, v82
	s_and_b32 s16, s62, vcc_lo
	v_lshrrev_b32_e32 v2, 1, v2
	v_and_b32_e32 v11, 0x3ffffff0, v2
	v_mov_b32_e32 v2, 0
	v_max_i32_e32 v52, s58, v11
	s_and_saveexec_b32 s22, s16
	s_cbranch_execz .LBB2_984
; %bb.800:                              ;   in Loop: Header=BB2_799 Depth=2
	v_add_co_u32 v8, vcc_lo, v8, v50
	v_add_co_ci_u32_e64 v9, null, v9, v51, vcc_lo
	v_mov_b32_e32 v54, 0
	s_mov_b32 s29, 1
	s_mov_b32 s28, -1
	v_lshlrev_b64 v[64:65], 3, v[8:9]
	s_branch .LBB2_802
.LBB2_801:                              ;   in Loop: Header=BB2_802 Depth=3
	s_or_b32 exec_lo, exec_lo, s16
	v_add_nc_u32_e32 v54, v52, v54
	s_xor_b32 s16, s28, -1
	v_mov_b32_e32 v2, s29
	s_mov_b32 s28, 0
	s_mov_b32 s29, 2
	v_cmp_ge_i32_e32 vcc_lo, v54, v82
	s_or_b32 s16, s16, vcc_lo
	s_and_b32 s16, exec_lo, s16
	s_or_b32 s25, s16, s25
	s_andn2_b32 exec_lo, exec_lo, s25
	s_cbranch_execz .LBB2_983
.LBB2_802:                              ;   Parent Loop BB2_47 Depth=1
                                        ;     Parent Loop BB2_799 Depth=2
                                        ; =>    This Loop Header: Depth=3
                                        ;         Child Loop BB2_810 Depth 4
                                        ;         Child Loop BB2_838 Depth 4
	;; [unrolled: 1-line block ×4, first 2 shown]
                                        ;           Child Loop BB2_885 Depth 5
                                        ;         Child Loop BB2_891 Depth 4
                                        ;           Child Loop BB2_892 Depth 5
                                        ;         Child Loop BB2_901 Depth 4
	;; [unrolled: 2-line block ×4, first 2 shown]
                                        ;         Child Loop BB2_926 Depth 4
                                        ;         Child Loop BB2_934 Depth 4
	;; [unrolled: 1-line block ×5, first 2 shown]
	s_and_saveexec_b32 s17, s4
	s_cbranch_execz .LBB2_804
; %bb.803:                              ;   in Loop: Header=BB2_802 Depth=3
	s_trap 2
	ds_read_b128 v[8:11], v0
	v_ashrrev_i32_e32 v55, 31, v54
	v_lshlrev_b64 v[66:67], 3, v[54:55]
	s_waitcnt lgkmcnt(0)
	v_add_co_u32 v2, vcc_lo, v10, v64
	v_add_co_ci_u32_e64 v53, null, v11, v65, vcc_lo
	v_add_co_u32 v8, vcc_lo, v8, v64
	v_add_co_ci_u32_e64 v9, null, v9, v65, vcc_lo
	;; [unrolled: 2-line block ×3, first 2 shown]
	v_cmp_ne_u64_e32 vcc_lo, 0, v[10:11]
	v_add_co_u32 v8, s16, v8, v66
	v_add_co_ci_u32_e64 v9, null, v9, v67, s16
	v_cndmask_b32_e32 v11, 0, v53, vcc_lo
	v_cndmask_b32_e32 v10, 0, v2, vcc_lo
	ds_write_b64 v0, v[8:9]
	ds_write_b64 v0, v[10:11]
.LBB2_804:                              ;   in Loop: Header=BB2_802 Depth=3
	s_or_b32 exec_lo, exec_lo, s17
	v_sub_nc_u32_e32 v2, v82, v54
	v_and_b32_e32 v8, 12, v87
	s_mov_b32 s17, exec_lo
	v_min_i32_e32 v52, v52, v2
	v_cmpx_ne_u32_e32 0, v8
	s_cbranch_execz .LBB2_830
; %bb.805:                              ;   in Loop: Header=BB2_802 Depth=3
	v_and_b32_e32 v2, 8, v87
	s_mov_b32 s18, exec_lo
	s_waitcnt vmcnt(0) lgkmcnt(1)
	v_add_co_u32 v10, vcc_lo, v26, v2
	v_add_co_ci_u32_e64 v11, null, 0, v27, vcc_lo
	v_add_co_u32 v8, vcc_lo, v38, 2
	v_add_co_ci_u32_e64 v9, null, 0, v39, vcc_lo
	v_cmpx_lt_u64_e64 v[10:11], v[8:9]
	s_cbranch_execz .LBB2_817
; %bb.806:                              ;   in Loop: Header=BB2_802 Depth=3
	v_and_b32_e32 v10, 64, v87
	s_mov_b32 s19, 0
	s_mov_b32 s76, 0
                                        ; implicit-def: $sgpr26
                                        ; implicit-def: $sgpr27
                                        ; implicit-def: $sgpr75
	v_cmp_eq_u32_e32 vcc_lo, 0, v10
	s_branch .LBB2_810
.LBB2_807:                              ;   in Loop: Header=BB2_810 Depth=4
	s_waitcnt vmcnt(0) lgkmcnt(0)
	v_add_co_u32 v66, s16, v26, v2
	v_add_co_ci_u32_e64 v67, null, 0, v27, s16
	s_or_b32 s79, s79, exec_lo
	v_cmp_ge_u64_e64 s16, v[66:67], v[8:9]
	s_orn2_b32 s78, s16, exec_lo
.LBB2_808:                              ;   in Loop: Header=BB2_810 Depth=4
	s_or_b32 exec_lo, exec_lo, s89
	s_andn2_b32 s16, s75, exec_lo
	s_and_b32 s75, s79, exec_lo
	s_andn2_b32 s27, s27, exec_lo
	s_and_b32 s78, s78, exec_lo
	s_or_b32 s75, s16, s75
	s_or_b32 s27, s27, s78
.LBB2_809:                              ;   in Loop: Header=BB2_810 Depth=4
	s_or_b32 exec_lo, exec_lo, s77
	s_and_b32 s16, exec_lo, s27
	s_or_b32 s19, s16, s19
	s_andn2_b32 s16, s26, exec_lo
	s_and_b32 s26, s75, exec_lo
	s_or_b32 s26, s16, s26
	s_andn2_b32 exec_lo, exec_lo, s19
	s_cbranch_execz .LBB2_814
.LBB2_810:                              ;   Parent Loop BB2_47 Depth=1
                                        ;     Parent Loop BB2_799 Depth=2
                                        ;       Parent Loop BB2_802 Depth=3
                                        ; =>      This Inner Loop Header: Depth=4
	s_sleep 1
	s_waitcnt vmcnt(0) lgkmcnt(0)
	flat_load_dwordx2 v[26:27], v[20:21] glc dlc
	s_or_b32 s75, s75, exec_lo
	s_or_b32 s27, s27, exec_lo
                                        ; implicit-def: $vgpr10
	s_and_saveexec_b32 s77, vcc_lo
	s_cbranch_execz .LBB2_809
; %bb.811:                              ;   in Loop: Header=BB2_810 Depth=4
	s_cmpk_lt_i32 s76, 0x270f
	s_mov_b32 s78, -1
	s_cselect_b32 s88, -1, 0
	s_cmpk_gt_i32 s76, 0x270e
	s_cbranch_scc0 .LBB2_813
; %bb.812:                              ;   in Loop: Header=BB2_810 Depth=4
	s_trap 2
	ds_read_b64 v[10:11], v0
	s_andn2_b32 s76, s88, exec_lo
	s_mov_b32 s79, 0
	s_waitcnt vmcnt(0) lgkmcnt(0)
	s_waitcnt_vscnt null, 0x0
	flat_load_dword v10, v[10:11] glc dlc
	s_waitcnt vmcnt(0) lgkmcnt(0)
	buffer_gl1_inv
	buffer_gl0_inv
	v_cmp_eq_u32_e64 s16, 0, v10
	s_and_b32 s16, s16, exec_lo
	s_or_b32 s88, s76, s16
	s_mov_b32 s76, 0
	s_and_saveexec_b32 s89, s88
	s_cbranch_execz .LBB2_808
	s_branch .LBB2_807
.LBB2_813:                              ;   in Loop: Header=BB2_810 Depth=4
	s_add_i32 s76, s76, 1
	s_mov_b32 s79, -1
                                        ; implicit-def: $vgpr10
	s_and_saveexec_b32 s89, s88
	s_cbranch_execz .LBB2_808
	s_branch .LBB2_807
.LBB2_814:                              ;   in Loop: Header=BB2_802 Depth=3
	s_or_b32 exec_lo, exec_lo, s19
	s_xor_b32 s16, s26, -1
	s_and_saveexec_b32 s19, s16
	s_xor_b32 s16, exec_lo, s19
	s_cbranch_execz .LBB2_816
; %bb.815:                              ;   in Loop: Header=BB2_802 Depth=3
	v_or_b32_e32 v87, 64, v87
	s_waitcnt vmcnt(0) lgkmcnt(0)
	s_waitcnt_vscnt null, 0x0
	ds_write_b32 v0, v10
	s_trap 2
.LBB2_816:                              ;   in Loop: Header=BB2_802 Depth=3
	s_or_b32 exec_lo, exec_lo, s16
.LBB2_817:                              ;   in Loop: Header=BB2_802 Depth=3
	s_or_b32 exec_lo, exec_lo, s18
	v_and_b32_e32 v10, 0x108, v87
	s_mov_b32 s16, exec_lo
	;;#ASMSTART
	s_wakeup
	;;#ASMEND
	v_cmpx_ne_u32_e32 0x108, v10
	s_xor_b32 s16, exec_lo, s16
                                        ; implicit-def: $vgpr55
; %bb.818:                              ;   in Loop: Header=BB2_802 Depth=3
	v_and_b32_e32 v55, 7, v38
                                        ; implicit-def: $vgpr38_vgpr39
; %bb.819:                              ;   in Loop: Header=BB2_802 Depth=3
	s_andn2_saveexec_b32 s16, s16
	s_cbranch_execz .LBB2_821
; %bb.820:                              ;   in Loop: Header=BB2_802 Depth=3
	v_and_b32_e32 v55, 7, v38
	v_ashrrev_i32_e32 v53, 31, v52
	v_mad_u64_u32 v[10:11], null, v55, 24, v[6:7]
	v_lshlrev_b64 v[38:39], 3, v[52:53]
	flat_store_dwordx2 v[10:11], v[38:39] offset:8
.LBB2_821:                              ;   in Loop: Header=BB2_802 Depth=3
	s_or_b32 exec_lo, exec_lo, s16
	v_and_b32_e32 v10, 0x100, v87
	s_mov_b32 s16, -1
	v_cmp_ne_u32_e32 vcc_lo, 0, v10
                                        ; implicit-def: $vgpr10_vgpr11
	s_and_saveexec_b32 s18, vcc_lo
	s_cbranch_execz .LBB2_825
; %bb.822:                              ;   in Loop: Header=BB2_802 Depth=3
	v_mad_u64_u32 v[38:39], null, v55, 24, v[6:7]
	v_mov_b32_e32 v10, v39
	v_mad_u64_u32 v[10:11], null, v3, 24, v[10:11]
	v_mov_b32_e32 v39, v10
	flat_load_dword v10, v[38:39]
	s_waitcnt vmcnt(0) lgkmcnt(0)
	v_cmp_eq_u32_e64 s16, 1, v10
	v_cmp_ne_u32_e32 vcc_lo, 1, v10
                                        ; implicit-def: $vgpr10_vgpr11
	s_and_saveexec_b32 s19, s16
	s_cbranch_execz .LBB2_824
; %bb.823:                              ;   in Loop: Header=BB2_802 Depth=3
	flat_load_dword v10, v[38:39] offset:4 glc dlc
	s_waitcnt vmcnt(0) lgkmcnt(0)
	v_ashrrev_i32_e32 v11, 31, v10
	v_lshrrev_b64 v[10:11], 3, v[10:11]
.LBB2_824:                              ;   in Loop: Header=BB2_802 Depth=3
	s_or_b32 exec_lo, exec_lo, s19
	s_orn2_b32 s16, vcc_lo, exec_lo
.LBB2_825:                              ;   in Loop: Header=BB2_802 Depth=3
	s_or_b32 exec_lo, exec_lo, s18
	s_and_saveexec_b32 s18, s16
; %bb.826:                              ;   in Loop: Header=BB2_802 Depth=3
	v_mul_lo_u32 v38, v3, v96
	v_mul_lo_u32 v39, v55, v30
	v_mad_u64_u32 v[10:11], null, v55, v96, 0
	v_add3_u32 v11, v11, v39, v38
; %bb.827:                              ;   in Loop: Header=BB2_802 Depth=3
	s_or_b32 exec_lo, exec_lo, s18
	v_cmp_eq_u32_e32 vcc_lo, 0, v2
	v_lshlrev_b64 v[10:11], 3, v[10:11]
	v_and_b32_e32 v38, 0x2000, v87
	s_mov_b32 s16, exec_lo
	v_cndmask_b32_e32 v2, 0xd0, v103, vcc_lo
	v_add_co_u32 v10, vcc_lo, v22, v10
	v_add_co_ci_u32_e64 v11, null, v23, v11, vcc_lo
	v_add_nc_u32_e32 v2, v0, v2
	ds_write_b64 v2, v[10:11] offset:584
	v_cmpx_ne_u32_e32 0, v38
	s_cbranch_execz .LBB2_829
; %bb.828:                              ;   in Loop: Header=BB2_802 Depth=3
	ds_read_b64 v[10:11], v0 offset:872
	s_waitcnt lgkmcnt(0)
	v_add_co_u32 v10, vcc_lo, v10, 1
	v_add_co_ci_u32_e64 v11, null, 0, v11, vcc_lo
	ds_write_b64 v0, v[10:11] offset:872
.LBB2_829:                              ;   in Loop: Header=BB2_802 Depth=3
	s_or_b32 exec_lo, exec_lo, s16
	v_mov_b32_e32 v39, v9
	v_mov_b32_e32 v38, v8
.LBB2_830:                              ;   in Loop: Header=BB2_802 Depth=3
	s_or_b32 exec_lo, exec_lo, s17
	s_and_saveexec_b32 s16, s6
	s_cbranch_execz .LBB2_849
; %bb.831:                              ;   in Loop: Header=BB2_802 Depth=3
	s_and_saveexec_b32 s17, s44
	s_xor_b32 s17, exec_lo, s17
	s_cbranch_execz .LBB2_846
; %bb.832:                              ;   in Loop: Header=BB2_802 Depth=3
	s_and_saveexec_b32 s18, s11
	s_cbranch_execz .LBB2_845
; %bb.833:                              ;   in Loop: Header=BB2_802 Depth=3
	s_mov_b32 s26, exec_lo
	s_mov_b32 s19, exec_lo
	v_mbcnt_lo_u32_b32 v2, s26, 0
	s_waitcnt vmcnt(0) lgkmcnt(0)
	s_waitcnt_vscnt null, 0x0
	buffer_gl1_inv
	buffer_gl0_inv
	v_cmpx_eq_u32_e32 0, v2
	s_cbranch_execz .LBB2_835
; %bb.834:                              ;   in Loop: Header=BB2_802 Depth=3
	s_bcnt1_i32_b32 s26, s26
	v_mov_b32_e32 v2, s26
	ds_add_u64 v0, v[2:3]
	s_trap 2
.LBB2_835:                              ;   in Loop: Header=BB2_802 Depth=3
	s_or_b32 exec_lo, exec_lo, s19
	s_trap 2
	ds_read_b64 v[8:9], v0
	s_waitcnt lgkmcnt(0)
	buffer_gl0_inv
	v_add_co_u32 v12, vcc_lo, v12, v97
	v_add_co_ci_u32_e64 v13, null, 0, v13, vcc_lo
	s_mov_b32 s19, exec_lo
	v_cmpx_lt_u64_e64 v[8:9], v[12:13]
	s_cbranch_execz .LBB2_844
; %bb.836:                              ;   in Loop: Header=BB2_802 Depth=3
	s_mov_b32 s26, 0
	s_mov_b32 s76, 0
                                        ; implicit-def: $sgpr27
                                        ; implicit-def: $sgpr75
	s_inst_prefetch 0x1
	s_branch .LBB2_838
	.p2align	6
.LBB2_837:                              ;   in Loop: Header=BB2_838 Depth=4
	s_or_b32 exec_lo, exec_lo, s78
	s_and_b32 s77, exec_lo, s79
	s_or_b32 s26, s77, s26
	s_andn2_b32 s27, s27, exec_lo
	s_and_b32 s77, s75, exec_lo
	s_or_b32 s27, s27, s77
	s_andn2_b32 exec_lo, exec_lo, s26
	s_cbranch_execz .LBB2_842
.LBB2_838:                              ;   Parent Loop BB2_47 Depth=1
                                        ;     Parent Loop BB2_799 Depth=2
                                        ;       Parent Loop BB2_802 Depth=3
                                        ; =>      This Inner Loop Header: Depth=4
	s_add_i32 s76, s76, 1
	s_cmpk_lg_i32 s76, 0x2710
	s_cselect_b32 s77, -1, 0
	s_and_b32 vcc_lo, exec_lo, s77
	s_cbranch_vccz .LBB2_840
; %bb.839:                              ;   in Loop: Header=BB2_838 Depth=4
	s_mov_b32 s79, -1
	s_or_b32 s75, s75, exec_lo
	s_and_saveexec_b32 s78, s77
	s_cbranch_execz .LBB2_837
	s_branch .LBB2_841
	.p2align	6
.LBB2_840:                              ;   in Loop: Header=BB2_838 Depth=4
	s_trap 2
	ds_read_b64 v[8:9], v0
	s_andn2_b32 s77, s77, exec_lo
	s_mov_b32 s76, 0
	s_waitcnt lgkmcnt(0)
	flat_load_dword v2, v[8:9] glc dlc
	s_waitcnt vmcnt(0) lgkmcnt(0)
	buffer_gl1_inv
	buffer_gl0_inv
	v_cmp_eq_u32_e32 vcc_lo, 0, v2
	s_and_b32 s78, vcc_lo, exec_lo
	s_or_b32 s77, s77, s78
	s_mov_b32 s79, -1
	s_or_b32 s75, s75, exec_lo
	s_and_saveexec_b32 s78, s77
	s_cbranch_execz .LBB2_837
.LBB2_841:                              ;   in Loop: Header=BB2_838 Depth=4
	s_sleep 1
	s_trap 2
	ds_read_b64 v[8:9], v0
	s_waitcnt lgkmcnt(0)
	buffer_gl0_inv
	s_andn2_b32 s75, s75, exec_lo
	v_cmp_ge_u64_e32 vcc_lo, v[8:9], v[12:13]
	s_orn2_b32 s79, vcc_lo, exec_lo
	s_branch .LBB2_837
.LBB2_842:                              ;   in Loop: Header=BB2_802 Depth=3
	s_inst_prefetch 0x2
	s_or_b32 exec_lo, exec_lo, s26
	s_and_saveexec_b32 s26, s27
	s_xor_b32 s26, exec_lo, s26
	s_cbranch_execz .LBB2_844
; %bb.843:                              ;   in Loop: Header=BB2_802 Depth=3
	ds_write_b32 v0, v101
	s_trap 2
.LBB2_844:                              ;   in Loop: Header=BB2_802 Depth=3
	s_or_b32 exec_lo, exec_lo, s19
	;;#ASMSTART
	s_wakeup
	;;#ASMEND
.LBB2_845:                              ;   in Loop: Header=BB2_802 Depth=3
	s_or_b32 exec_lo, exec_lo, s18
.LBB2_846:                              ;   in Loop: Header=BB2_802 Depth=3
	s_andn2_saveexec_b32 s17, s17
	s_cbranch_execz .LBB2_848
; %bb.847:                              ;   in Loop: Header=BB2_802 Depth=3
	s_waitcnt vmcnt(0) lgkmcnt(0)
	s_waitcnt_vscnt null, 0x0
	buffer_gl1_inv
	buffer_gl0_inv
	s_barrier
.LBB2_848:                              ;   in Loop: Header=BB2_802 Depth=3
	s_or_b32 exec_lo, exec_lo, s17
.LBB2_849:                              ;   in Loop: Header=BB2_802 Depth=3
	s_or_b32 exec_lo, exec_lo, s16
	s_trap 2
	ds_read_b32 v8, v0
	v_and_b32_e32 v2, 0x4000, v87
	s_xor_b32 s16, s5, -1
	v_cmp_ne_u32_e32 vcc_lo, 0, v2
	s_and_b32 s17, s16, vcc_lo
	s_and_saveexec_b32 s16, s17
	s_cbranch_execz .LBB2_868
; %bb.850:                              ;   in Loop: Header=BB2_802 Depth=3
	s_and_saveexec_b32 s17, s44
	s_xor_b32 s17, exec_lo, s17
	s_cbranch_execz .LBB2_865
; %bb.851:                              ;   in Loop: Header=BB2_802 Depth=3
	s_and_saveexec_b32 s18, s11
	s_cbranch_execz .LBB2_864
; %bb.852:                              ;   in Loop: Header=BB2_802 Depth=3
	s_mov_b32 s26, exec_lo
	s_mov_b32 s19, exec_lo
	v_mbcnt_lo_u32_b32 v2, s26, 0
	s_waitcnt vmcnt(0) lgkmcnt(0)
	s_waitcnt_vscnt null, 0x0
	buffer_gl1_inv
	buffer_gl0_inv
	v_cmpx_eq_u32_e32 0, v2
	s_cbranch_execz .LBB2_854
; %bb.853:                              ;   in Loop: Header=BB2_802 Depth=3
	s_bcnt1_i32_b32 s26, s26
	v_mov_b32_e32 v2, s26
	ds_add_u64 v0, v[2:3]
	s_trap 2
.LBB2_854:                              ;   in Loop: Header=BB2_802 Depth=3
	s_or_b32 exec_lo, exec_lo, s19
	s_trap 2
	ds_read_b64 v[9:10], v0
	s_waitcnt lgkmcnt(0)
	buffer_gl0_inv
	v_add_co_u32 v12, vcc_lo, v12, v97
	v_add_co_ci_u32_e64 v13, null, 0, v13, vcc_lo
	s_mov_b32 s19, exec_lo
	v_cmpx_lt_u64_e64 v[9:10], v[12:13]
	s_cbranch_execz .LBB2_863
; %bb.855:                              ;   in Loop: Header=BB2_802 Depth=3
	s_mov_b32 s26, 0
	s_mov_b32 s76, 0
                                        ; implicit-def: $sgpr27
                                        ; implicit-def: $sgpr75
	s_inst_prefetch 0x1
	s_branch .LBB2_857
	.p2align	6
.LBB2_856:                              ;   in Loop: Header=BB2_857 Depth=4
	s_or_b32 exec_lo, exec_lo, s78
	s_and_b32 s77, exec_lo, s79
	s_or_b32 s26, s77, s26
	s_andn2_b32 s27, s27, exec_lo
	s_and_b32 s77, s75, exec_lo
	s_or_b32 s27, s27, s77
	s_andn2_b32 exec_lo, exec_lo, s26
	s_cbranch_execz .LBB2_861
.LBB2_857:                              ;   Parent Loop BB2_47 Depth=1
                                        ;     Parent Loop BB2_799 Depth=2
                                        ;       Parent Loop BB2_802 Depth=3
                                        ; =>      This Inner Loop Header: Depth=4
	s_add_i32 s76, s76, 1
	s_cmpk_lg_i32 s76, 0x2710
	s_cselect_b32 s77, -1, 0
	s_and_b32 vcc_lo, exec_lo, s77
	s_cbranch_vccz .LBB2_859
; %bb.858:                              ;   in Loop: Header=BB2_857 Depth=4
	s_mov_b32 s79, -1
	s_or_b32 s75, s75, exec_lo
	s_and_saveexec_b32 s78, s77
	s_cbranch_execz .LBB2_856
	s_branch .LBB2_860
	.p2align	6
.LBB2_859:                              ;   in Loop: Header=BB2_857 Depth=4
	s_trap 2
	ds_read_b64 v[9:10], v0
	s_andn2_b32 s77, s77, exec_lo
	s_mov_b32 s76, 0
	s_waitcnt lgkmcnt(0)
	flat_load_dword v2, v[9:10] glc dlc
	s_waitcnt vmcnt(0) lgkmcnt(0)
	buffer_gl1_inv
	buffer_gl0_inv
	v_cmp_eq_u32_e32 vcc_lo, 0, v2
	s_and_b32 s78, vcc_lo, exec_lo
	s_or_b32 s77, s77, s78
	s_mov_b32 s79, -1
	s_or_b32 s75, s75, exec_lo
	s_and_saveexec_b32 s78, s77
	s_cbranch_execz .LBB2_856
.LBB2_860:                              ;   in Loop: Header=BB2_857 Depth=4
	s_sleep 1
	s_trap 2
	ds_read_b64 v[9:10], v0
	s_waitcnt lgkmcnt(0)
	buffer_gl0_inv
	s_andn2_b32 s75, s75, exec_lo
	v_cmp_ge_u64_e32 vcc_lo, v[9:10], v[12:13]
	s_orn2_b32 s79, vcc_lo, exec_lo
	s_branch .LBB2_856
.LBB2_861:                              ;   in Loop: Header=BB2_802 Depth=3
	s_inst_prefetch 0x2
	s_or_b32 exec_lo, exec_lo, s26
	s_and_saveexec_b32 s26, s27
	s_xor_b32 s26, exec_lo, s26
	s_cbranch_execz .LBB2_863
; %bb.862:                              ;   in Loop: Header=BB2_802 Depth=3
	ds_write_b32 v0, v101
	s_trap 2
.LBB2_863:                              ;   in Loop: Header=BB2_802 Depth=3
	s_or_b32 exec_lo, exec_lo, s19
	;;#ASMSTART
	s_wakeup
	;;#ASMEND
.LBB2_864:                              ;   in Loop: Header=BB2_802 Depth=3
	s_or_b32 exec_lo, exec_lo, s18
.LBB2_865:                              ;   in Loop: Header=BB2_802 Depth=3
	s_andn2_saveexec_b32 s17, s17
	s_cbranch_execz .LBB2_867
; %bb.866:                              ;   in Loop: Header=BB2_802 Depth=3
	s_waitcnt vmcnt(0) lgkmcnt(0)
	s_waitcnt_vscnt null, 0x0
	buffer_gl1_inv
	buffer_gl0_inv
	s_barrier
.LBB2_867:                              ;   in Loop: Header=BB2_802 Depth=3
	s_or_b32 exec_lo, exec_lo, s17
.LBB2_868:                              ;   in Loop: Header=BB2_802 Depth=3
	s_or_b32 exec_lo, exec_lo, s16
	s_trap 2
	ds_read_b64 v[66:67], v0
	s_waitcnt lgkmcnt(0)
	v_cmp_eq_u64_e32 vcc_lo, 0, v[66:67]
	s_cbranch_vccnz .LBB2_877
; %bb.869:                              ;   in Loop: Header=BB2_802 Depth=3
	s_trap 2
	ds_read_b64 v[68:69], v0
	s_waitcnt lgkmcnt(0)
	v_cmp_eq_u64_e32 vcc_lo, 0, v[68:69]
	s_cbranch_vccnz .LBB2_877
; %bb.870:                              ;   in Loop: Header=BB2_802 Depth=3
	s_trap 2
	ds_read_b64 v[70:71], v0
	v_cmp_eq_u32_e32 vcc_lo, 0, v8
	s_mov_b32 s16, -1
	v_cndmask_b32_e32 v2, 0, v52, vcc_lo
	v_lshlrev_b32_e32 v53, 3, v2
	s_waitcnt lgkmcnt(0)
	v_cmp_ne_u64_e32 vcc_lo, 0, v[70:71]
	s_cbranch_vccz .LBB2_912
; %bb.871:                              ;   in Loop: Header=BB2_802 Depth=3
	s_and_saveexec_b32 s17, s13
	s_cbranch_execz .LBB2_873
; %bb.872:                              ;   in Loop: Header=BB2_802 Depth=3
	ds_read_b32 v8, v0 offset:720
	s_waitcnt lgkmcnt(0)
	v_and_b32_e32 v8, 15, v8
	v_cmp_eq_u32_e32 vcc_lo, 0, v8
	s_orn2_b32 s16, vcc_lo, exec_lo
.LBB2_873:                              ;   in Loop: Header=BB2_802 Depth=3
	s_or_b32 exec_lo, exec_lo, s17
	s_and_saveexec_b32 s17, s14
	s_cbranch_execz .LBB2_875
; %bb.874:                              ;   in Loop: Header=BB2_802 Depth=3
	ds_read_b32 v8, v0 offset:784
	s_waitcnt lgkmcnt(0)
	v_and_b32_e32 v8, 15, v8
	v_cmp_eq_u32_e32 vcc_lo, 0, v8
	s_and_b32 s18, s16, vcc_lo
	s_andn2_b32 s16, s16, exec_lo
	s_and_b32 s18, s18, exec_lo
	s_or_b32 s16, s16, s18
.LBB2_875:                              ;   in Loop: Header=BB2_802 Depth=3
	s_or_b32 exec_lo, exec_lo, s17
	s_xor_b32 s16, s16, -1
	v_mov_b32_e32 v55, 0
	v_cndmask_b32_e64 v8, 0, 1, s16
	v_mov_b32_e32 v80, v53
	v_mov_b32_e32 v81, v98
	s_mov_b32 s17, -1
	v_cmp_ne_u32_e32 vcc_lo, 0, v8
	v_mov_b32_e32 v8, v0
	s_cbranch_vccz .LBB2_882
; %bb.876:                              ;   in Loop: Header=BB2_802 Depth=3
	s_and_saveexec_b32 s75, s17
	s_cbranch_execnz .LBB2_899
	s_branch .LBB2_911
.LBB2_877:                              ;   in Loop: Header=BB2_802 Depth=3
	s_mov_b32 s16, 0
	s_and_saveexec_b32 s17, s6
	s_cbranch_execnz .LBB2_942
.LBB2_878:                              ;   in Loop: Header=BB2_802 Depth=3
	s_or_b32 exec_lo, exec_lo, s17
                                        ; implicit-def: $vgpr2
	s_and_saveexec_b32 s17, s15
	s_xor_b32 s17, exec_lo, s17
	s_cbranch_execz .LBB2_960
.LBB2_879:                              ;   in Loop: Header=BB2_802 Depth=3
	v_and_b32_e32 v2, 16, v87
	v_cmp_ne_u32_e32 vcc_lo, 0, v2
	v_and_b32_e32 v2, 16, v87
	s_and_b32 s18, vcc_lo, s16
	s_and_saveexec_b32 s16, s18
	s_cbranch_execz .LBB2_881
; %bb.880:                              ;   in Loop: Header=BB2_802 Depth=3
	v_mov_b32_e32 v2, 1
	s_waitcnt vmcnt(0) lgkmcnt(0)
	s_waitcnt_vscnt null, 0x0
	buffer_gl1_inv
	buffer_gl0_inv
.LBB2_881:                              ;   in Loop: Header=BB2_802 Depth=3
	s_or_b32 exec_lo, exec_lo, s16
	s_andn2_saveexec_b32 s16, s17
	s_cbranch_execz .LBB2_979
	s_branch .LBB2_961
.LBB2_882:                              ;   in Loop: Header=BB2_802 Depth=3
	v_ashrrev_i32_e32 v8, 31, v53
	v_sub_nc_u32_e32 v55, v53, v100
	s_mov_b32 s19, exec_lo
	v_lshrrev_b32_e32 v8, 23, v8
	v_add_nc_u32_e32 v8, v53, v8
	v_and_b32_e32 v83, 0xfffffe00, v8
	v_ashrrev_i32_e32 v8, 9, v8
	v_sub_nc_u32_e32 v85, v53, v83
	v_sub_nc_u32_e32 v8, v8, v99
	v_cmp_lt_i32_e64 s16, 15, v85
	v_add_co_ci_u32_e64 v56, null, 0, v8, s16
	v_cmpx_lt_i32_e32 15, v55
	s_cbranch_execz .LBB2_888
; %bb.883:                              ;   in Loop: Header=BB2_802 Depth=3
	v_add_co_u32 v80, vcc_lo, v66, v100
	v_add_co_ci_u32_e64 v81, null, 0, v67, vcc_lo
	v_add_co_u32 v84, vcc_lo, v68, v100
	v_add_co_ci_u32_e64 v57, null, 0, v69, vcc_lo
	;; [unrolled: 2-line block ×3, first 2 shown]
	s_mov_b32 s75, 0
	s_inst_prefetch 0x1
	.p2align	6
.LBB2_884:                              ;   Parent Loop BB2_47 Depth=1
                                        ;     Parent Loop BB2_799 Depth=2
                                        ;       Parent Loop BB2_802 Depth=3
                                        ; =>      This Loop Header: Depth=4
                                        ;           Child Loop BB2_885 Depth 5
	global_load_dwordx4 v[8:11], v[80:81], off slc
	s_mov_b64 s[26:27], 0
	s_mov_b32 s76, -1
	.p2align	6
.LBB2_885:                              ;   Parent Loop BB2_47 Depth=1
                                        ;     Parent Loop BB2_799 Depth=2
                                        ;       Parent Loop BB2_802 Depth=3
                                        ;         Parent Loop BB2_884 Depth=4
                                        ; =>        This Inner Loop Header: Depth=5
	s_cmp_eq_u32 s26, 1
	s_cselect_b32 vcc_lo, -1, 0
	s_cmp_eq_u32 s26, 0
	v_cndmask_b32_e32 v60, v84, v58, vcc_lo
	v_cndmask_b32_e32 v61, v57, v59, vcc_lo
	s_mov_b64 s[26:27], 1
	v_add_co_u32 v62, s17, 0x200, v60
	v_add_co_ci_u32_e64 v63, null, 0, v61, s17
	s_cselect_b32 s17, -1, 0
	v_cndmask_b32_e32 v58, v58, v62, vcc_lo
	v_cndmask_b32_e64 v84, v84, v62, s17
	v_cndmask_b32_e32 v59, v59, v63, vcc_lo
	v_cndmask_b32_e64 v57, v57, v63, s17
	s_and_b32 s18, exec_lo, s76
	s_mov_b32 s76, 0
	s_mov_b32 vcc_lo, s18
	s_waitcnt vmcnt(0)
	global_store_dwordx4 v[60:61], v[8:11], off glc slc
	s_cbranch_vccnz .LBB2_885
; %bb.886:                              ;   in Loop: Header=BB2_884 Depth=4
	v_sub_nc_u32_e32 v55, v55, v113
	v_add_co_u32 v84, vcc_lo, v84, v116
	v_add_co_ci_u32_e64 v57, null, v57, v119, vcc_lo
	v_add_co_u32 v58, vcc_lo, v58, v116
	v_add_co_ci_u32_e64 v59, null, v59, v119, vcc_lo
	v_cmp_gt_i32_e32 vcc_lo, 16, v55
	v_add_co_u32 v80, s17, v42, v80
	v_add_co_ci_u32_e64 v81, null, v43, v81, s17
	v_sub_nc_u32_e32 v56, v56, v97
	s_or_b32 s75, vcc_lo, s75
	s_andn2_b32 exec_lo, exec_lo, s75
	s_cbranch_execnz .LBB2_884
; %bb.887:                              ;   in Loop: Header=BB2_802 Depth=3
	s_inst_prefetch 0x2
	s_or_b32 exec_lo, exec_lo, s75
.LBB2_888:                              ;   in Loop: Header=BB2_802 Depth=3
	s_or_b32 exec_lo, exec_lo, s19
	v_and_b32_e32 v9, 8, v53
	v_mov_b32_e32 v55, 0
	s_mov_b32 s17, 0
	s_mov_b32 s19, exec_lo
                                        ; implicit-def: $vgpr80
                                        ; implicit-def: $vgpr8
                                        ; implicit-def: $vgpr81
	v_cndmask_b32_e64 v84, v85, v9, s16
	v_cmpx_ne_u32_e32 0, v84
	s_cbranch_execz .LBB2_898
; %bb.889:                              ;   in Loop: Header=BB2_802 Depth=3
	v_cmp_lt_i32_e32 vcc_lo, 0, v56
	v_ashrrev_i32_e32 v11, 31, v84
	v_sub_nc_u32_e32 v9, v85, v9
	s_mov_b32 s75, exec_lo
	v_cndmask_b32_e32 v8, 0, v97, vcc_lo
	v_lshrrev_b32_e32 v11, 23, v11
	v_cndmask_b32_e64 v9, 0, v9, s16
	v_sub_nc_u32_e32 v8, v8, v56
	v_add_nc_u32_e32 v11, v84, v11
	v_add_nc_u32_e32 v83, v9, v83
	v_lshl_or_b32 v8, v8, 5, v98
	v_and_b32_e32 v56, 0xfffffe00, v11
	v_ashrrev_i32_e32 v11, 9, v11
	v_ashrrev_i32_e32 v10, 31, v8
	v_sub_nc_u32_e32 v85, v84, v56
	v_lshrrev_b32_e32 v10, 27, v10
	v_cmp_lt_i32_e64 s16, 15, v85
	v_add_nc_u32_e32 v10, v8, v10
	v_add_co_ci_u32_e64 v11, null, 0, v11, s16
	v_and_b32_e32 v55, 0xffffffe0, v10
	v_ashrrev_i32_e32 v10, 5, v10
	v_sub_nc_u32_e32 v57, v8, v55
	v_sub_nc_u32_e32 v58, v11, v10
	v_lshlrev_b32_e32 v8, 4, v57
	v_lshl_add_u32 v8, v10, 9, v8
	v_sub_nc_u32_e32 v55, v84, v8
	v_cmpx_lt_i32_e32 15, v55
	s_cbranch_execz .LBB2_895
; %bb.890:                              ;   in Loop: Header=BB2_802 Depth=3
	v_add_nc_u32_e32 v8, v8, v83
	s_mov_b32 s76, 0
	v_ashrrev_i32_e32 v9, 31, v8
	v_add_co_u32 v80, vcc_lo, v8, v66
	v_add_co_ci_u32_e64 v81, null, v9, v67, vcc_lo
	v_add_co_u32 v59, vcc_lo, v8, v68
	v_add_co_ci_u32_e64 v60, null, v9, v69, vcc_lo
	;; [unrolled: 2-line block ×3, first 2 shown]
	s_inst_prefetch 0x1
	.p2align	6
.LBB2_891:                              ;   Parent Loop BB2_47 Depth=1
                                        ;     Parent Loop BB2_799 Depth=2
                                        ;       Parent Loop BB2_802 Depth=3
                                        ; =>      This Loop Header: Depth=4
                                        ;           Child Loop BB2_892 Depth 5
	global_load_dwordx4 v[8:11], v[80:81], off slc
	s_mov_b64 s[26:27], 0
	s_mov_b32 s77, -1
	.p2align	6
.LBB2_892:                              ;   Parent Loop BB2_47 Depth=1
                                        ;     Parent Loop BB2_799 Depth=2
                                        ;       Parent Loop BB2_802 Depth=3
                                        ;         Parent Loop BB2_891 Depth=4
                                        ; =>        This Inner Loop Header: Depth=5
	s_cmp_eq_u32 s26, 1
	s_cselect_b32 vcc_lo, -1, 0
	s_cmp_eq_u32 s26, 0
	v_cndmask_b32_e32 v72, v59, v61, vcc_lo
	v_cndmask_b32_e32 v73, v60, v62, vcc_lo
	s_mov_b64 s[26:27], 1
	v_add_co_u32 v63, s17, 0x200, v72
	v_add_co_ci_u32_e64 v74, null, 0, v73, s17
	s_cselect_b32 s17, -1, 0
	v_cndmask_b32_e32 v61, v61, v63, vcc_lo
	v_cndmask_b32_e64 v59, v59, v63, s17
	v_cndmask_b32_e32 v62, v62, v74, vcc_lo
	v_cndmask_b32_e64 v60, v60, v74, s17
	s_and_b32 s18, exec_lo, s77
	s_mov_b32 s77, 0
	s_mov_b32 vcc_lo, s18
	s_waitcnt vmcnt(0)
	global_store_dwordx4 v[72:73], v[8:11], off glc slc
	s_cbranch_vccnz .LBB2_892
; %bb.893:                              ;   in Loop: Header=BB2_891 Depth=4
	v_sub_nc_u32_e32 v55, v55, v113
	v_add_co_u32 v59, vcc_lo, v59, v116
	v_add_co_ci_u32_e64 v60, null, v60, v119, vcc_lo
	v_add_co_u32 v61, vcc_lo, v61, v116
	v_add_co_ci_u32_e64 v62, null, v62, v119, vcc_lo
	v_cmp_gt_i32_e32 vcc_lo, 16, v55
	v_add_co_u32 v80, s17, v42, v80
	v_add_co_ci_u32_e64 v81, null, v43, v81, s17
	v_sub_nc_u32_e32 v58, v58, v97
	s_or_b32 s76, vcc_lo, s76
	s_andn2_b32 exec_lo, exec_lo, s76
	s_cbranch_execnz .LBB2_891
; %bb.894:                              ;   in Loop: Header=BB2_802 Depth=3
	s_inst_prefetch 0x2
	s_or_b32 exec_lo, exec_lo, s76
.LBB2_895:                              ;   in Loop: Header=BB2_802 Depth=3
	s_or_b32 exec_lo, exec_lo, s75
	v_and_b32_e32 v9, 8, v84
	v_mov_b32_e32 v55, 0
	s_mov_b32 s17, 0
	s_mov_b32 s18, exec_lo
                                        ; implicit-def: $vgpr8
                                        ; implicit-def: $vgpr81
	v_cndmask_b32_e64 v80, v85, v9, s16
	v_cmpx_ne_u32_e32 0, v80
	s_cbranch_execz .LBB2_897
; %bb.896:                              ;   in Loop: Header=BB2_802 Depth=3
	v_cmp_lt_i32_e32 vcc_lo, 0, v58
	v_sub_nc_u32_e32 v9, v85, v9
	s_mov_b32 s17, exec_lo
	v_cndmask_b32_e32 v8, 0, v97, vcc_lo
	v_cndmask_b32_e64 v9, 0, v9, s16
	v_sub_nc_u32_e32 v8, v8, v58
	v_add3_u32 v55, v56, v83, v9
	v_lshl_add_u32 v8, v8, 5, v57
	v_ashrrev_i32_e32 v10, 31, v8
	v_lshrrev_b32_e32 v10, 27, v10
	v_add_nc_u32_e32 v10, v8, v10
	v_and_b32_e32 v10, 0xffffffe0, v10
	v_sub_nc_u32_e32 v81, v8, v10
.LBB2_897:                              ;   in Loop: Header=BB2_802 Depth=3
	s_or_b32 exec_lo, exec_lo, s18
	s_and_b32 s17, s17, exec_lo
.LBB2_898:                              ;   in Loop: Header=BB2_802 Depth=3
	s_or_b32 exec_lo, exec_lo, s19
	s_and_saveexec_b32 s75, s17
	s_cbranch_execz .LBB2_911
.LBB2_899:                              ;   in Loop: Header=BB2_802 Depth=3
	v_ashrrev_i32_e32 v9, 31, v8
	v_ashrrev_i32_e32 v10, 31, v80
	s_mov_b32 s19, exec_lo
	v_lshrrev_b32_e32 v9, 27, v9
	v_add_nc_u32_e32 v8, v8, v9
	v_add_nc_u32_sdwa v9, v80, v10 dst_sel:DWORD dst_unused:UNUSED_PAD src0_sel:DWORD src1_sel:BYTE_3
	v_ashrrev_i32_e32 v10, 5, v8
	v_and_b32_e32 v83, 0xffffff00, v9
	v_lshlrev_b32_e32 v8, 3, v81
	v_ashrrev_i32_e32 v9, 8, v9
	v_sub_nc_u32_e32 v84, v80, v83
	v_lshl_add_u32 v8, v10, 8, v8
	v_sub_nc_u32_e32 v9, v9, v10
	v_cmp_lt_i32_e64 s16, 7, v84
	v_sub_nc_u32_e32 v56, v80, v8
	v_add_co_ci_u32_e64 v85, null, 0, v9, s16
	v_cmpx_lt_i32_e32 7, v56
	s_cbranch_execz .LBB2_905
; %bb.900:                              ;   in Loop: Header=BB2_802 Depth=3
	v_add_nc_u32_e32 v10, v8, v55
	s_mov_b32 s76, 0
	v_ashrrev_i32_e32 v11, 31, v10
	v_add_co_u32 v8, vcc_lo, v10, v66
	v_add_co_ci_u32_e64 v9, null, v11, v67, vcc_lo
	v_add_co_u32 v57, vcc_lo, v10, v68
	v_add_co_ci_u32_e64 v58, null, v11, v69, vcc_lo
	;; [unrolled: 2-line block ×3, first 2 shown]
	s_inst_prefetch 0x1
	.p2align	6
.LBB2_901:                              ;   Parent Loop BB2_47 Depth=1
                                        ;     Parent Loop BB2_799 Depth=2
                                        ;       Parent Loop BB2_802 Depth=3
                                        ; =>      This Loop Header: Depth=4
                                        ;           Child Loop BB2_902 Depth 5
	flat_load_dwordx2 v[10:11], v[8:9] slc
	s_mov_b64 s[26:27], 0
	s_mov_b32 s77, -1
	.p2align	6
.LBB2_902:                              ;   Parent Loop BB2_47 Depth=1
                                        ;     Parent Loop BB2_799 Depth=2
                                        ;       Parent Loop BB2_802 Depth=3
                                        ;         Parent Loop BB2_901 Depth=4
                                        ; =>        This Inner Loop Header: Depth=5
	s_cmp_eq_u32 s26, 1
	s_cselect_b32 vcc_lo, -1, 0
	s_cmp_eq_u32 s26, 0
	v_cndmask_b32_e32 v61, v57, v59, vcc_lo
	v_cndmask_b32_e32 v62, v58, v60, vcc_lo
	s_mov_b64 s[26:27], 1
	v_add_co_u32 v63, s17, 0x100, v61
	v_add_co_ci_u32_e64 v72, null, 0, v62, s17
	s_cselect_b32 s17, -1, 0
	v_cndmask_b32_e32 v59, v59, v63, vcc_lo
	v_cndmask_b32_e64 v57, v57, v63, s17
	v_cndmask_b32_e32 v60, v60, v72, vcc_lo
	v_cndmask_b32_e64 v58, v58, v72, s17
	s_and_b32 s18, exec_lo, s77
	s_mov_b32 s77, 0
	s_mov_b32 vcc_lo, s18
	s_waitcnt vmcnt(0) lgkmcnt(0)
	flat_store_dwordx2 v[61:62], v[10:11] glc slc
	s_cbranch_vccnz .LBB2_902
; %bb.903:                              ;   in Loop: Header=BB2_901 Depth=4
	v_sub_nc_u32_e32 v56, v56, v114
	v_add_co_u32 v57, vcc_lo, v57, v117
	v_add_co_ci_u32_e64 v58, null, v58, v40, vcc_lo
	v_add_co_u32 v59, vcc_lo, v59, v117
	v_add_co_ci_u32_e64 v60, null, v60, v40, vcc_lo
	v_cmp_gt_i32_e32 vcc_lo, 8, v56
	v_add_co_u32 v8, s17, v44, v8
	v_add_co_ci_u32_e64 v9, null, v45, v9, s17
	v_sub_nc_u32_e32 v85, v85, v97
	s_or_b32 s76, vcc_lo, s76
	s_andn2_b32 exec_lo, exec_lo, s76
	s_cbranch_execnz .LBB2_901
; %bb.904:                              ;   in Loop: Header=BB2_802 Depth=3
	s_inst_prefetch 0x2
	s_or_b32 exec_lo, exec_lo, s76
.LBB2_905:                              ;   in Loop: Header=BB2_802 Depth=3
	s_or_b32 exec_lo, exec_lo, s19
	v_and_b32_e32 v8, 7, v80
	v_cndmask_b32_e64 v9, v84, v8, s16
	v_cmp_ne_u32_e32 vcc_lo, 0, v9
	s_and_b32 exec_lo, exec_lo, vcc_lo
	s_cbranch_execz .LBB2_911
; %bb.906:                              ;   in Loop: Header=BB2_802 Depth=3
	v_cmp_lt_i32_e32 vcc_lo, 0, v85
	v_cndmask_b32_e32 v10, 0, v97, vcc_lo
	v_sub_nc_u32_e32 v10, v10, v85
	v_lshl_add_u32 v10, v10, 5, v81
	v_ashrrev_i32_e32 v11, 31, v10
	v_lshrrev_b32_e32 v11, 27, v11
	v_add_nc_u32_e32 v11, v10, v11
	v_and_b32_e32 v80, 0x1fffffe0, v11
	v_lshlrev_b32_e32 v11, 3, v11
	v_sub_nc_u32_e32 v10, v10, v80
	v_and_b32_e32 v11, 0xffffff00, v11
	v_lshl_add_u32 v10, v10, 3, v11
	v_sub_nc_u32_e32 v80, v9, v10
	v_cmp_lt_i32_e32 vcc_lo, 7, v80
	s_and_b32 exec_lo, exec_lo, vcc_lo
	s_cbranch_execz .LBB2_911
; %bb.907:                              ;   in Loop: Header=BB2_802 Depth=3
	v_sub_nc_u32_e32 v8, v84, v8
	v_add_nc_u32_e32 v9, v83, v55
	s_mov_b32 s26, 0
	v_cndmask_b32_e64 v8, 0, v8, s16
	v_add3_u32 v10, v9, v8, v10
	v_ashrrev_i32_e32 v11, 31, v10
	v_add_co_u32 v8, vcc_lo, v10, v66
	v_add_co_ci_u32_e64 v9, null, v11, v67, vcc_lo
	v_add_co_u32 v55, vcc_lo, v10, v68
	v_add_co_ci_u32_e64 v81, null, v11, v69, vcc_lo
	;; [unrolled: 2-line block ×3, first 2 shown]
	s_inst_prefetch 0x1
	.p2align	6
.LBB2_908:                              ;   Parent Loop BB2_47 Depth=1
                                        ;     Parent Loop BB2_799 Depth=2
                                        ;       Parent Loop BB2_802 Depth=3
                                        ; =>      This Loop Header: Depth=4
                                        ;           Child Loop BB2_909 Depth 5
	flat_load_dwordx2 v[10:11], v[8:9] slc
	s_mov_b64 s[18:19], 0
	s_mov_b32 s27, -1
	.p2align	6
.LBB2_909:                              ;   Parent Loop BB2_47 Depth=1
                                        ;     Parent Loop BB2_799 Depth=2
                                        ;       Parent Loop BB2_802 Depth=3
                                        ;         Parent Loop BB2_908 Depth=4
                                        ; =>        This Inner Loop Header: Depth=5
	s_cmp_eq_u32 s18, 1
	s_cselect_b32 vcc_lo, -1, 0
	s_cmp_eq_u32 s18, 0
	v_cndmask_b32_e32 v83, v55, v70, vcc_lo
	v_cndmask_b32_e32 v84, v81, v71, vcc_lo
	s_mov_b64 s[18:19], 1
	v_add_co_u32 v85, s16, 0x100, v83
	v_add_co_ci_u32_e64 v56, null, 0, v84, s16
	s_cselect_b32 s16, -1, 0
	v_cndmask_b32_e32 v70, v70, v85, vcc_lo
	v_cndmask_b32_e64 v55, v55, v85, s16
	v_cndmask_b32_e32 v71, v71, v56, vcc_lo
	v_cndmask_b32_e64 v81, v81, v56, s16
	s_and_b32 s17, exec_lo, s27
	s_mov_b32 s27, 0
	s_mov_b32 vcc_lo, s17
	s_waitcnt vmcnt(0) lgkmcnt(0)
	flat_store_dwordx2 v[83:84], v[10:11] glc slc
	s_cbranch_vccnz .LBB2_909
; %bb.910:                              ;   in Loop: Header=BB2_908 Depth=4
	v_sub_nc_u32_e32 v80, v80, v115
	v_add_co_u32 v55, vcc_lo, v55, v118
	v_add_co_ci_u32_e64 v81, null, v81, v41, vcc_lo
	v_add_co_u32 v70, vcc_lo, v70, v118
	v_add_co_ci_u32_e64 v71, null, v71, v41, vcc_lo
	v_cmp_gt_i32_e32 vcc_lo, 8, v80
	v_add_co_u32 v8, s16, v46, v8
	v_add_co_ci_u32_e64 v9, null, v47, v9, s16
	s_or_b32 s26, vcc_lo, s26
	s_andn2_b32 exec_lo, exec_lo, s26
	s_cbranch_execnz .LBB2_908
.LBB2_911:                              ;   in Loop: Header=BB2_802 Depth=3
	s_inst_prefetch 0x2
	s_or_b32 exec_lo, exec_lo, s75
	s_mov_b32 s16, 0
.LBB2_912:                              ;   in Loop: Header=BB2_802 Depth=3
	s_and_b32 vcc_lo, exec_lo, s16
	s_cbranch_vccz .LBB2_941
; %bb.913:                              ;   in Loop: Header=BB2_802 Depth=3
	s_mov_b32 s16, -1
	s_and_saveexec_b32 s17, s13
	s_cbranch_execz .LBB2_915
; %bb.914:                              ;   in Loop: Header=BB2_802 Depth=3
	ds_read_b32 v8, v0 offset:720
	s_waitcnt lgkmcnt(0)
	v_and_b32_e32 v8, 15, v8
	v_cmp_eq_u32_e32 vcc_lo, 0, v8
	s_orn2_b32 s16, vcc_lo, exec_lo
.LBB2_915:                              ;   in Loop: Header=BB2_802 Depth=3
	s_or_b32 exec_lo, exec_lo, s17
	s_and_saveexec_b32 s17, s12
	s_cbranch_execz .LBB2_917
; %bb.916:                              ;   in Loop: Header=BB2_802 Depth=3
	ds_read_b32 v8, v0 offset:784
	s_waitcnt lgkmcnt(0)
	v_and_b32_e32 v8, 15, v8
	v_cmp_eq_u32_e32 vcc_lo, 0, v8
	s_and_b32 s18, s16, vcc_lo
	s_andn2_b32 s16, s16, exec_lo
	s_and_b32 s18, s18, exec_lo
	s_or_b32 s16, s16, s18
.LBB2_917:                              ;   in Loop: Header=BB2_802 Depth=3
	s_or_b32 exec_lo, exec_lo, s17
	s_xor_b32 s16, s16, -1
	v_cndmask_b32_e64 v8, 0, 1, s16
	s_mov_b32 s16, -1
	v_cmp_ne_u32_e32 vcc_lo, 0, v8
	v_mov_b32_e32 v8, 0
	s_cbranch_vccz .LBB2_919
; %bb.918:                              ;   in Loop: Header=BB2_802 Depth=3
	v_mov_b32_e32 v80, v0
	v_mov_b32_e32 v9, v98
	s_and_saveexec_b32 s18, s16
	s_cbranch_execnz .LBB2_932
	s_branch .LBB2_940
.LBB2_919:                              ;   in Loop: Header=BB2_802 Depth=3
	v_ashrrev_i32_e32 v8, 31, v53
	s_mov_b32 s17, exec_lo
	v_lshrrev_b32_e32 v8, 22, v8
	v_add_nc_u32_e32 v8, v53, v8
	v_ashrrev_i32_e32 v10, 10, v8
	v_sub_nc_u32_e32 v11, v10, v99
	v_cmpx_lt_i32_e32 0, v11
	s_cbranch_execz .LBB2_923
; %bb.920:                              ;   in Loop: Header=BB2_802 Depth=3
	v_mov_b32_e32 v8, v34
	v_mov_b32_e32 v9, v35
	s_mov_b32 s18, 0
	.p2align	6
.LBB2_921:                              ;   Parent Loop BB2_47 Depth=1
                                        ;     Parent Loop BB2_799 Depth=2
                                        ;       Parent Loop BB2_802 Depth=3
                                        ; =>      This Inner Loop Header: Depth=4
	v_add_co_u32 v70, vcc_lo, v66, v8
	v_add_co_ci_u32_e64 v71, null, v67, v9, vcc_lo
	v_sub_nc_u32_e32 v11, v11, v97
	s_clause 0x1
	global_load_dwordx4 v[55:58], v[70:71], off slc
	global_load_dwordx4 v[59:62], v[70:71], off offset:512 slc
	v_add_co_u32 v70, vcc_lo, v68, v8
	v_add_co_ci_u32_e64 v71, null, v69, v9, vcc_lo
	v_cmp_gt_i32_e32 vcc_lo, 1, v11
	v_add_co_u32 v8, s16, v8, v112
	v_add_co_ci_u32_e64 v9, null, 0, v9, s16
	s_or_b32 s18, vcc_lo, s18
	s_waitcnt vmcnt(1)
	global_store_dwordx4 v[70:71], v[55:58], off glc slc
	s_waitcnt vmcnt(0)
	global_store_dwordx4 v[70:71], v[59:62], off offset:512 glc slc
	s_andn2_b32 exec_lo, exec_lo, s18
	s_cbranch_execnz .LBB2_921
; %bb.922:                              ;   in Loop: Header=BB2_802 Depth=3
	s_or_b32 exec_lo, exec_lo, s18
.LBB2_923:                              ;   in Loop: Header=BB2_802 Depth=3
	s_or_b32 exec_lo, exec_lo, s17
	v_lshlrev_b32_e32 v10, 10, v10
	v_mov_b32_e32 v8, 0
	s_mov_b32 s16, 0
	s_mov_b32 s18, exec_lo
                                        ; implicit-def: $vgpr80
                                        ; implicit-def: $vgpr9
	v_cmpx_ne_u32_e64 v53, v10
	s_cbranch_execz .LBB2_931
; %bb.924:                              ;   in Loop: Header=BB2_802 Depth=3
	v_lshlrev_b32_e32 v8, 5, v11
	v_sub_nc_u32_e32 v71, v53, v10
	s_mov_b32 s19, exec_lo
	v_sub_nc_u32_e32 v8, v98, v8
	v_ashrrev_i32_e32 v11, 31, v71
	v_ashrrev_i32_e32 v9, 31, v8
	v_lshrrev_b32_e32 v11, 23, v11
	v_lshrrev_b32_e32 v9, 27, v9
	v_add_nc_u32_e32 v80, v71, v11
	v_add_nc_u32_e32 v9, v8, v9
	v_and_b32_e32 v11, 0xfffffe00, v80
	v_ashrrev_i32_e32 v80, 9, v80
	v_and_b32_e32 v55, 0xffffffe0, v9
	v_sub_nc_u32_e32 v70, v71, v11
	v_ashrrev_i32_e32 v81, 5, v9
	v_sub_nc_u32_e32 v55, v8, v55
	v_cmp_lt_i32_e32 vcc_lo, 15, v70
	v_lshlrev_b32_e32 v8, 4, v55
	v_add_co_ci_u32_e64 v80, null, 0, v80, vcc_lo
	v_lshl_add_u32 v9, v81, 9, v8
	v_sub_nc_u32_e32 v8, v71, v9
	v_sub_nc_u32_e32 v71, v80, v81
	v_cmpx_lt_i32_e32 15, v8
	s_cbranch_execz .LBB2_928
; %bb.925:                              ;   in Loop: Header=BB2_802 Depth=3
	v_add_nc_u32_e32 v9, v9, v10
	s_mov_b32 s26, 0
	v_ashrrev_i32_e32 v80, 31, v9
	.p2align	6
.LBB2_926:                              ;   Parent Loop BB2_47 Depth=1
                                        ;     Parent Loop BB2_799 Depth=2
                                        ;       Parent Loop BB2_802 Depth=3
                                        ; =>      This Inner Loop Header: Depth=4
	v_add_co_u32 v83, s16, v66, v9
	v_add_co_ci_u32_e64 v84, null, v67, v80, s16
	v_sub_nc_u32_e32 v8, v8, v113
	v_sub_nc_u32_e32 v71, v71, v97
	global_load_dwordx4 v[56:59], v[83:84], off slc
	v_add_co_u32 v83, s16, v68, v9
	v_add_co_ci_u32_e64 v84, null, v69, v80, s16
	v_cmp_gt_i32_e64 s16, 16, v8
	v_add_co_u32 v9, s17, v9, v113
	v_add_co_ci_u32_e64 v80, null, 0, v80, s17
	s_or_b32 s26, s16, s26
	s_waitcnt vmcnt(0)
	global_store_dwordx4 v[83:84], v[56:59], off glc slc
	s_andn2_b32 exec_lo, exec_lo, s26
	s_cbranch_execnz .LBB2_926
; %bb.927:                              ;   in Loop: Header=BB2_802 Depth=3
	s_or_b32 exec_lo, exec_lo, s26
.LBB2_928:                              ;   in Loop: Header=BB2_802 Depth=3
	s_or_b32 exec_lo, exec_lo, s19
	v_and_b32_e32 v81, 8, v53
	v_mov_b32_e32 v8, 0
	s_mov_b32 s17, 0
	s_mov_b32 s19, exec_lo
                                        ; implicit-def: $vgpr80
                                        ; implicit-def: $vgpr9
	v_cndmask_b32_e32 v53, v70, v81, vcc_lo
	v_cmpx_ne_u32_e32 0, v53
	s_cbranch_execz .LBB2_930
; %bb.929:                              ;   in Loop: Header=BB2_802 Depth=3
	v_cmp_lt_i32_e64 s16, 0, v71
	v_sub_nc_u32_e32 v9, v70, v81
	s_mov_b32 s17, exec_lo
	v_cndmask_b32_e64 v8, 0, v97, s16
	v_cndmask_b32_e32 v9, 0, v9, vcc_lo
	v_sub_nc_u32_e32 v8, v8, v71
	v_lshl_add_u32 v80, v8, 5, v55
	v_ashrrev_i32_e32 v8, 31, v80
	v_lshrrev_b32_e32 v8, 27, v8
	v_add_nc_u32_e32 v8, v80, v8
	v_and_b32_e32 v55, 0xffffffe0, v8
	v_add3_u32 v8, v11, v10, v9
	v_sub_nc_u32_e32 v9, v80, v55
.LBB2_930:                              ;   in Loop: Header=BB2_802 Depth=3
	s_or_b32 exec_lo, exec_lo, s19
	s_and_b32 s16, s17, exec_lo
.LBB2_931:                              ;   in Loop: Header=BB2_802 Depth=3
	s_or_b32 exec_lo, exec_lo, s18
	s_and_saveexec_b32 s18, s16
	s_cbranch_execz .LBB2_940
.LBB2_932:                              ;   in Loop: Header=BB2_802 Depth=3
	v_ashrrev_i32_e32 v10, 31, v80
	v_ashrrev_i32_e32 v11, 31, v53
	v_lshlrev_b32_e32 v70, 3, v9
	s_mov_b32 s19, exec_lo
	v_lshrrev_b32_e32 v10, 27, v10
	v_add_nc_u32_sdwa v11, v53, v11 dst_sel:DWORD dst_unused:UNUSED_PAD src0_sel:DWORD src1_sel:BYTE_3
	v_add_nc_u32_e32 v10, v80, v10
	v_ashrrev_i32_e32 v80, 8, v11
	v_ashrrev_i32_e32 v55, 5, v10
	v_and_b32_e32 v10, 0xffffff00, v11
	v_lshl_add_u32 v71, v55, 8, v70
	v_sub_nc_u32_e32 v11, v53, v10
	v_sub_nc_u32_e32 v55, v80, v55
	;; [unrolled: 1-line block ×3, first 2 shown]
	v_cmp_lt_i32_e32 vcc_lo, 7, v11
	v_add_co_ci_u32_e64 v55, null, 0, v55, vcc_lo
	v_cmpx_lt_i32_e32 7, v70
	s_cbranch_execz .LBB2_936
; %bb.933:                              ;   in Loop: Header=BB2_802 Depth=3
	v_add_nc_u32_e32 v71, v71, v8
	s_mov_b32 s26, 0
	v_ashrrev_i32_e32 v80, 31, v71
	.p2align	6
.LBB2_934:                              ;   Parent Loop BB2_47 Depth=1
                                        ;     Parent Loop BB2_799 Depth=2
                                        ;       Parent Loop BB2_802 Depth=3
                                        ; =>      This Inner Loop Header: Depth=4
	v_add_co_u32 v83, s16, v66, v71
	v_add_co_ci_u32_e64 v84, null, v67, v80, s16
	v_sub_nc_u32_e32 v70, v70, v114
	v_add_co_u32 v56, s16, v68, v71
	flat_load_dwordx2 v[83:84], v[83:84] slc
	v_add_co_ci_u32_e64 v57, null, v69, v80, s16
	v_cmp_gt_i32_e64 s16, 8, v70
	v_add_co_u32 v71, s17, v71, v114
	v_sub_nc_u32_e32 v55, v55, v97
	v_add_co_ci_u32_e64 v80, null, 0, v80, s17
	s_or_b32 s26, s16, s26
	s_waitcnt vmcnt(0) lgkmcnt(0)
	flat_store_dwordx2 v[56:57], v[83:84] glc slc
	s_andn2_b32 exec_lo, exec_lo, s26
	s_cbranch_execnz .LBB2_934
; %bb.935:                              ;   in Loop: Header=BB2_802 Depth=3
	s_or_b32 exec_lo, exec_lo, s26
.LBB2_936:                              ;   in Loop: Header=BB2_802 Depth=3
	s_or_b32 exec_lo, exec_lo, s19
	v_and_b32_e32 v53, 7, v53
	v_cndmask_b32_e32 v70, v11, v53, vcc_lo
	v_cmp_ne_u32_e64 s16, 0, v70
	s_and_b32 exec_lo, exec_lo, s16
	s_cbranch_execz .LBB2_940
; %bb.937:                              ;   in Loop: Header=BB2_802 Depth=3
	v_cmp_lt_i32_e64 s16, 0, v55
	v_cndmask_b32_e64 v71, 0, v97, s16
	v_sub_nc_u32_e32 v55, v71, v55
	v_lshl_add_u32 v9, v55, 5, v9
	v_ashrrev_i32_e32 v55, 31, v9
	v_lshrrev_b32_e32 v55, 27, v55
	v_add_nc_u32_e32 v55, v9, v55
	v_and_b32_e32 v71, 0x1fffffe0, v55
	v_lshlrev_b32_e32 v55, 3, v55
	v_sub_nc_u32_e32 v9, v9, v71
	v_and_b32_e32 v55, 0xffffff00, v55
	v_lshl_add_u32 v55, v9, 3, v55
	v_sub_nc_u32_e32 v9, v70, v55
	v_cmp_lt_i32_e64 s16, 7, v9
	s_and_b32 exec_lo, exec_lo, s16
	s_cbranch_execz .LBB2_940
; %bb.938:                              ;   in Loop: Header=BB2_802 Depth=3
	v_sub_nc_u32_e32 v11, v11, v53
	v_add_nc_u32_e32 v8, v10, v8
	s_mov_b32 s17, 0
	v_cndmask_b32_e32 v10, 0, v11, vcc_lo
	v_add3_u32 v8, v8, v10, v55
	v_ashrrev_i32_e32 v10, 31, v8
	.p2align	6
.LBB2_939:                              ;   Parent Loop BB2_47 Depth=1
                                        ;     Parent Loop BB2_799 Depth=2
                                        ;       Parent Loop BB2_802 Depth=3
                                        ; =>      This Inner Loop Header: Depth=4
	v_add_co_u32 v70, vcc_lo, v66, v8
	v_add_co_ci_u32_e64 v71, null, v67, v10, vcc_lo
	v_sub_nc_u32_e32 v9, v9, v115
	v_add_co_u32 v80, vcc_lo, v68, v8
	flat_load_dwordx2 v[70:71], v[70:71] slc
	v_add_co_ci_u32_e64 v81, null, v69, v10, vcc_lo
	v_cmp_gt_i32_e32 vcc_lo, 8, v9
	v_add_co_u32 v8, s16, v8, v114
	v_add_co_ci_u32_e64 v10, null, 0, v10, s16
	s_or_b32 s17, vcc_lo, s17
	s_waitcnt vmcnt(0) lgkmcnt(0)
	flat_store_dwordx2 v[80:81], v[70:71] glc slc
	s_andn2_b32 exec_lo, exec_lo, s17
	s_cbranch_execnz .LBB2_939
.LBB2_940:                              ;   in Loop: Header=BB2_802 Depth=3
	s_or_b32 exec_lo, exec_lo, s18
.LBB2_941:                              ;   in Loop: Header=BB2_802 Depth=3
	v_cmp_lt_i32_e64 s16, 0, v2
	s_and_saveexec_b32 s17, s6
	s_cbranch_execz .LBB2_878
.LBB2_942:                              ;   in Loop: Header=BB2_802 Depth=3
	s_and_saveexec_b32 s18, s44
	s_xor_b32 s18, exec_lo, s18
	s_cbranch_execz .LBB2_957
; %bb.943:                              ;   in Loop: Header=BB2_802 Depth=3
	s_and_saveexec_b32 s19, s11
	s_cbranch_execz .LBB2_956
; %bb.944:                              ;   in Loop: Header=BB2_802 Depth=3
	s_mov_b32 s27, exec_lo
	s_mov_b32 s26, exec_lo
	v_mbcnt_lo_u32_b32 v2, s27, 0
	s_waitcnt vmcnt(0) lgkmcnt(0)
	s_waitcnt_vscnt null, 0x0
	buffer_gl1_inv
	buffer_gl0_inv
	v_cmpx_eq_u32_e32 0, v2
	s_cbranch_execz .LBB2_946
; %bb.945:                              ;   in Loop: Header=BB2_802 Depth=3
	s_bcnt1_i32_b32 s27, s27
	v_mov_b32_e32 v2, s27
	ds_add_u64 v0, v[2:3]
	s_trap 2
.LBB2_946:                              ;   in Loop: Header=BB2_802 Depth=3
	s_or_b32 exec_lo, exec_lo, s26
	s_trap 2
	ds_read_b64 v[8:9], v0
	s_waitcnt lgkmcnt(0)
	buffer_gl0_inv
	v_add_co_u32 v12, vcc_lo, v12, v97
	v_add_co_ci_u32_e64 v13, null, 0, v13, vcc_lo
	s_mov_b32 s26, exec_lo
	v_cmpx_lt_u64_e64 v[8:9], v[12:13]
	s_cbranch_execz .LBB2_955
; %bb.947:                              ;   in Loop: Header=BB2_802 Depth=3
	s_mov_b32 s27, 0
	s_mov_b32 s77, 0
                                        ; implicit-def: $sgpr75
                                        ; implicit-def: $sgpr76
	s_inst_prefetch 0x1
	s_branch .LBB2_949
	.p2align	6
.LBB2_948:                              ;   in Loop: Header=BB2_949 Depth=4
	s_or_b32 exec_lo, exec_lo, s79
	s_and_b32 s78, exec_lo, s88
	s_or_b32 s27, s78, s27
	s_andn2_b32 s75, s75, exec_lo
	s_and_b32 s78, s76, exec_lo
	s_or_b32 s75, s75, s78
	s_andn2_b32 exec_lo, exec_lo, s27
	s_cbranch_execz .LBB2_953
.LBB2_949:                              ;   Parent Loop BB2_47 Depth=1
                                        ;     Parent Loop BB2_799 Depth=2
                                        ;       Parent Loop BB2_802 Depth=3
                                        ; =>      This Inner Loop Header: Depth=4
	s_add_i32 s77, s77, 1
	s_cmpk_lg_i32 s77, 0x2710
	s_cselect_b32 s78, -1, 0
	s_and_b32 vcc_lo, exec_lo, s78
	s_cbranch_vccz .LBB2_951
; %bb.950:                              ;   in Loop: Header=BB2_949 Depth=4
	s_mov_b32 s88, -1
	s_or_b32 s76, s76, exec_lo
	s_and_saveexec_b32 s79, s78
	s_cbranch_execz .LBB2_948
	s_branch .LBB2_952
	.p2align	6
.LBB2_951:                              ;   in Loop: Header=BB2_949 Depth=4
	s_trap 2
	ds_read_b64 v[8:9], v0
	s_andn2_b32 s78, s78, exec_lo
	s_mov_b32 s77, 0
	s_waitcnt lgkmcnt(0)
	flat_load_dword v2, v[8:9] glc dlc
	s_waitcnt vmcnt(0) lgkmcnt(0)
	buffer_gl1_inv
	buffer_gl0_inv
	v_cmp_eq_u32_e32 vcc_lo, 0, v2
	s_and_b32 s79, vcc_lo, exec_lo
	s_or_b32 s78, s78, s79
	s_mov_b32 s88, -1
	s_or_b32 s76, s76, exec_lo
	s_and_saveexec_b32 s79, s78
	s_cbranch_execz .LBB2_948
.LBB2_952:                              ;   in Loop: Header=BB2_949 Depth=4
	s_sleep 1
	s_trap 2
	ds_read_b64 v[8:9], v0
	s_waitcnt lgkmcnt(0)
	buffer_gl0_inv
	s_andn2_b32 s76, s76, exec_lo
	v_cmp_ge_u64_e32 vcc_lo, v[8:9], v[12:13]
	s_orn2_b32 s88, vcc_lo, exec_lo
	s_branch .LBB2_948
.LBB2_953:                              ;   in Loop: Header=BB2_802 Depth=3
	s_inst_prefetch 0x2
	s_or_b32 exec_lo, exec_lo, s27
	s_and_saveexec_b32 s27, s75
	s_xor_b32 s27, exec_lo, s27
	s_cbranch_execz .LBB2_955
; %bb.954:                              ;   in Loop: Header=BB2_802 Depth=3
	ds_write_b32 v0, v101
	s_trap 2
.LBB2_955:                              ;   in Loop: Header=BB2_802 Depth=3
	s_or_b32 exec_lo, exec_lo, s26
	;;#ASMSTART
	s_wakeup
	;;#ASMEND
.LBB2_956:                              ;   in Loop: Header=BB2_802 Depth=3
	s_or_b32 exec_lo, exec_lo, s19
.LBB2_957:                              ;   in Loop: Header=BB2_802 Depth=3
	s_andn2_saveexec_b32 s18, s18
	s_cbranch_execz .LBB2_959
; %bb.958:                              ;   in Loop: Header=BB2_802 Depth=3
	s_waitcnt vmcnt(0) lgkmcnt(0)
	s_waitcnt_vscnt null, 0x0
	buffer_gl1_inv
	buffer_gl0_inv
	s_barrier
.LBB2_959:                              ;   in Loop: Header=BB2_802 Depth=3
	s_or_b32 exec_lo, exec_lo, s18
	s_or_b32 exec_lo, exec_lo, s17
                                        ; implicit-def: $vgpr2
	s_and_saveexec_b32 s17, s15
	s_xor_b32 s17, exec_lo, s17
	s_cbranch_execnz .LBB2_879
.LBB2_960:                              ;   in Loop: Header=BB2_802 Depth=3
	s_andn2_saveexec_b32 s16, s17
	s_cbranch_execz .LBB2_979
.LBB2_961:                              ;   in Loop: Header=BB2_802 Depth=3
	s_and_saveexec_b32 s17, s44
	s_xor_b32 s17, exec_lo, s17
	s_cbranch_execz .LBB2_976
; %bb.962:                              ;   in Loop: Header=BB2_802 Depth=3
	s_and_saveexec_b32 s18, s11
	s_cbranch_execz .LBB2_975
; %bb.963:                              ;   in Loop: Header=BB2_802 Depth=3
	s_mov_b32 s26, exec_lo
	s_mov_b32 s19, exec_lo
	v_mbcnt_lo_u32_b32 v2, s26, 0
	;;#ASMSTART
	s_waitcnt lgkmcnt(0) vmcnt(0)
	;;#ASMEND
	v_cmpx_eq_u32_e32 0, v2
	s_cbranch_execz .LBB2_965
; %bb.964:                              ;   in Loop: Header=BB2_802 Depth=3
	s_bcnt1_i32_b32 s26, s26
	v_mov_b32_e32 v2, s26
	s_waitcnt vmcnt(0) lgkmcnt(0)
	s_waitcnt_vscnt null, 0x0
	ds_add_u64 v0, v[2:3]
	s_trap 2
.LBB2_965:                              ;   in Loop: Header=BB2_802 Depth=3
	s_or_b32 exec_lo, exec_lo, s19
	s_trap 2
	ds_read_b64 v[8:9], v0
	s_waitcnt vmcnt(0) lgkmcnt(0)
	buffer_gl0_inv
	v_add_co_u32 v12, vcc_lo, v12, v97
	v_add_co_ci_u32_e64 v13, null, 0, v13, vcc_lo
	s_mov_b32 s19, exec_lo
	v_cmpx_lt_u64_e64 v[8:9], v[12:13]
	s_cbranch_execz .LBB2_974
; %bb.966:                              ;   in Loop: Header=BB2_802 Depth=3
	s_mov_b32 s26, 0
	s_mov_b32 s76, 0
                                        ; implicit-def: $sgpr27
                                        ; implicit-def: $sgpr75
	s_inst_prefetch 0x1
	s_branch .LBB2_968
	.p2align	6
.LBB2_967:                              ;   in Loop: Header=BB2_968 Depth=4
	s_or_b32 exec_lo, exec_lo, s78
	s_and_b32 s77, exec_lo, s79
	s_or_b32 s26, s77, s26
	s_andn2_b32 s27, s27, exec_lo
	s_and_b32 s77, s75, exec_lo
	s_or_b32 s27, s27, s77
	s_andn2_b32 exec_lo, exec_lo, s26
	s_cbranch_execz .LBB2_972
.LBB2_968:                              ;   Parent Loop BB2_47 Depth=1
                                        ;     Parent Loop BB2_799 Depth=2
                                        ;       Parent Loop BB2_802 Depth=3
                                        ; =>      This Inner Loop Header: Depth=4
	s_add_i32 s76, s76, 1
	s_cmpk_lg_i32 s76, 0x2710
	s_cselect_b32 s77, -1, 0
	s_and_b32 vcc_lo, exec_lo, s77
	s_cbranch_vccz .LBB2_970
; %bb.969:                              ;   in Loop: Header=BB2_968 Depth=4
	s_mov_b32 s79, -1
	s_or_b32 s75, s75, exec_lo
	s_and_saveexec_b32 s78, s77
	s_cbranch_execz .LBB2_967
	s_branch .LBB2_971
	.p2align	6
.LBB2_970:                              ;   in Loop: Header=BB2_968 Depth=4
	s_trap 2
	ds_read_b64 v[8:9], v0
	s_andn2_b32 s77, s77, exec_lo
	s_mov_b32 s76, 0
	s_waitcnt lgkmcnt(0)
	s_waitcnt_vscnt null, 0x0
	flat_load_dword v2, v[8:9] glc dlc
	s_waitcnt vmcnt(0) lgkmcnt(0)
	buffer_gl1_inv
	buffer_gl0_inv
	v_cmp_eq_u32_e32 vcc_lo, 0, v2
	s_and_b32 s78, vcc_lo, exec_lo
	s_or_b32 s77, s77, s78
	s_mov_b32 s79, -1
	s_or_b32 s75, s75, exec_lo
	s_and_saveexec_b32 s78, s77
	s_cbranch_execz .LBB2_967
.LBB2_971:                              ;   in Loop: Header=BB2_968 Depth=4
	s_sleep 1
	s_trap 2
	ds_read_b64 v[8:9], v0
	s_waitcnt lgkmcnt(0)
	buffer_gl0_inv
	s_andn2_b32 s75, s75, exec_lo
	v_cmp_ge_u64_e32 vcc_lo, v[8:9], v[12:13]
	s_orn2_b32 s79, vcc_lo, exec_lo
	s_branch .LBB2_967
.LBB2_972:                              ;   in Loop: Header=BB2_802 Depth=3
	s_inst_prefetch 0x2
	s_or_b32 exec_lo, exec_lo, s26
	s_and_saveexec_b32 s26, s27
	s_xor_b32 s26, exec_lo, s26
	s_cbranch_execz .LBB2_974
; %bb.973:                              ;   in Loop: Header=BB2_802 Depth=3
	ds_write_b32 v0, v101
	s_trap 2
.LBB2_974:                              ;   in Loop: Header=BB2_802 Depth=3
	s_or_b32 exec_lo, exec_lo, s19
	;;#ASMSTART
	s_wakeup
	;;#ASMEND
.LBB2_975:                              ;   in Loop: Header=BB2_802 Depth=3
	s_or_b32 exec_lo, exec_lo, s18
.LBB2_976:                              ;   in Loop: Header=BB2_802 Depth=3
	s_andn2_saveexec_b32 s17, s17
	s_cbranch_execz .LBB2_978
; %bb.977:                              ;   in Loop: Header=BB2_802 Depth=3
	;;#ASMSTART
	s_waitcnt lgkmcnt(0) vmcnt(0)
	;;#ASMEND
	s_barrier
.LBB2_978:                              ;   in Loop: Header=BB2_802 Depth=3
	s_or_b32 exec_lo, exec_lo, s17
	v_and_b32_e32 v2, 16, v87
.LBB2_979:                              ;   in Loop: Header=BB2_802 Depth=3
	s_or_b32 exec_lo, exec_lo, s16
	v_cmp_ne_u32_e32 vcc_lo, 0, v2
	s_xor_b32 s16, s7, -1
	s_and_b32 s17, vcc_lo, s16
	s_and_saveexec_b32 s16, s17
	s_cbranch_execz .LBB2_981
; %bb.980:                              ;   in Loop: Header=BB2_802 Depth=3
	s_waitcnt vmcnt(0) lgkmcnt(0)
	s_waitcnt_vscnt null, 0x0
	flat_store_dword v[24:25], v101
.LBB2_981:                              ;   in Loop: Header=BB2_802 Depth=3
	s_or_b32 exec_lo, exec_lo, s16
	v_and_b32_e32 v2, 48, v87
	s_mov_b32 s16, exec_lo
	v_cmpx_ne_u32_e32 0, v2
	s_cbranch_execz .LBB2_801
; %bb.982:                              ;   in Loop: Header=BB2_802 Depth=3
	v_add_co_u32 v38, vcc_lo, v38, 2
	v_add_co_ci_u32_e64 v39, null, 0, v39, vcc_lo
	s_waitcnt vmcnt(0) lgkmcnt(0)
	s_waitcnt_vscnt null, 0x0
	flat_store_dwordx2 v[20:21], v[38:39]
	s_branch .LBB2_801
.LBB2_983:                              ;   in Loop: Header=BB2_799 Depth=2
	s_or_b32 exec_lo, exec_lo, s25
.LBB2_984:                              ;   in Loop: Header=BB2_799 Depth=2
	s_or_b32 exec_lo, exec_lo, s22
	s_mov_b32 s17, exec_lo
	v_cmpx_gt_i32_e32 2, v2
	s_cbranch_execz .LBB2_1060
; %bb.985:                              ;   in Loop: Header=BB2_799 Depth=2
	v_cmp_eq_u32_e64 s19, 0, v2
	s_mov_b32 s18, 0
	s_branch .LBB2_987
.LBB2_986:                              ;   in Loop: Header=BB2_987 Depth=3
	s_or_b32 exec_lo, exec_lo, s16
	v_add_nc_u32_e32 v54, v52, v54
	s_mov_b32 s19, 0
	s_andn2_b32 exec_lo, exec_lo, s18
	s_cbranch_execz .LBB2_1059
.LBB2_987:                              ;   Parent Loop BB2_47 Depth=1
                                        ;     Parent Loop BB2_799 Depth=2
                                        ; =>    This Loop Header: Depth=3
                                        ;         Child Loop BB2_993 Depth 4
                                        ;         Child Loop BB2_1021 Depth 4
	;; [unrolled: 1-line block ×3, first 2 shown]
	v_sub_nc_u32_e32 v2, v82, v54
	v_and_b32_e32 v8, 12, v87
	s_mov_b32 s22, exec_lo
	v_min_i32_e32 v52, v52, v2
	v_cmpx_ne_u32_e32 0, v8
	s_cbranch_execz .LBB2_1013
; %bb.988:                              ;   in Loop: Header=BB2_987 Depth=3
	v_and_b32_e32 v2, 8, v87
	s_mov_b32 s25, exec_lo
	s_waitcnt vmcnt(0) lgkmcnt(1)
	v_add_co_u32 v10, vcc_lo, v26, v2
	v_add_co_ci_u32_e64 v11, null, 0, v27, vcc_lo
	v_add_co_u32 v8, vcc_lo, v38, 2
	v_add_co_ci_u32_e64 v9, null, 0, v39, vcc_lo
	v_cmpx_lt_u64_e64 v[10:11], v[8:9]
	s_cbranch_execz .LBB2_1000
; %bb.989:                              ;   in Loop: Header=BB2_987 Depth=3
	v_and_b32_e32 v10, 64, v87
	s_mov_b32 s26, 0
	s_mov_b32 s75, 0
                                        ; implicit-def: $sgpr27
                                        ; implicit-def: $sgpr28
                                        ; implicit-def: $sgpr29
	v_cmp_eq_u32_e32 vcc_lo, 0, v10
	s_branch .LBB2_993
.LBB2_990:                              ;   in Loop: Header=BB2_993 Depth=4
	s_waitcnt vmcnt(0) lgkmcnt(0)
	v_add_co_u32 v64, s16, v26, v2
	v_add_co_ci_u32_e64 v65, null, 0, v27, s16
	s_or_b32 s78, s78, exec_lo
	v_cmp_ge_u64_e64 s16, v[64:65], v[8:9]
	s_orn2_b32 s77, s16, exec_lo
.LBB2_991:                              ;   in Loop: Header=BB2_993 Depth=4
	s_or_b32 exec_lo, exec_lo, s88
	s_andn2_b32 s16, s29, exec_lo
	s_and_b32 s29, s78, exec_lo
	s_andn2_b32 s28, s28, exec_lo
	s_and_b32 s77, s77, exec_lo
	s_or_b32 s29, s16, s29
	s_or_b32 s28, s28, s77
.LBB2_992:                              ;   in Loop: Header=BB2_993 Depth=4
	s_or_b32 exec_lo, exec_lo, s76
	s_and_b32 s16, exec_lo, s28
	s_or_b32 s26, s16, s26
	s_andn2_b32 s16, s27, exec_lo
	s_and_b32 s27, s29, exec_lo
	s_or_b32 s27, s16, s27
	s_andn2_b32 exec_lo, exec_lo, s26
	s_cbranch_execz .LBB2_997
.LBB2_993:                              ;   Parent Loop BB2_47 Depth=1
                                        ;     Parent Loop BB2_799 Depth=2
                                        ;       Parent Loop BB2_987 Depth=3
                                        ; =>      This Inner Loop Header: Depth=4
	s_sleep 1
	s_waitcnt vmcnt(0) lgkmcnt(0)
	flat_load_dwordx2 v[26:27], v[20:21] glc dlc
	s_or_b32 s29, s29, exec_lo
	s_or_b32 s28, s28, exec_lo
                                        ; implicit-def: $vgpr10
	s_and_saveexec_b32 s76, vcc_lo
	s_cbranch_execz .LBB2_992
; %bb.994:                              ;   in Loop: Header=BB2_993 Depth=4
	s_cmpk_lt_i32 s75, 0x270f
	s_mov_b32 s77, -1
	s_cselect_b32 s79, -1, 0
	s_cmpk_gt_i32 s75, 0x270e
	s_cbranch_scc0 .LBB2_996
; %bb.995:                              ;   in Loop: Header=BB2_993 Depth=4
	s_trap 2
	ds_read_b64 v[10:11], v0
	s_andn2_b32 s75, s79, exec_lo
	s_mov_b32 s78, 0
	s_waitcnt vmcnt(0) lgkmcnt(0)
	s_waitcnt_vscnt null, 0x0
	flat_load_dword v10, v[10:11] glc dlc
	s_waitcnt vmcnt(0) lgkmcnt(0)
	buffer_gl1_inv
	buffer_gl0_inv
	v_cmp_eq_u32_e64 s16, 0, v10
	s_and_b32 s16, s16, exec_lo
	s_or_b32 s79, s75, s16
	s_mov_b32 s75, 0
	s_and_saveexec_b32 s88, s79
	s_cbranch_execz .LBB2_991
	s_branch .LBB2_990
.LBB2_996:                              ;   in Loop: Header=BB2_993 Depth=4
	s_add_i32 s75, s75, 1
	s_mov_b32 s78, -1
                                        ; implicit-def: $vgpr10
	s_and_saveexec_b32 s88, s79
	s_cbranch_execz .LBB2_991
	s_branch .LBB2_990
.LBB2_997:                              ;   in Loop: Header=BB2_987 Depth=3
	s_or_b32 exec_lo, exec_lo, s26
	s_xor_b32 s16, s27, -1
	s_and_saveexec_b32 s26, s16
	s_xor_b32 s16, exec_lo, s26
	s_cbranch_execz .LBB2_999
; %bb.998:                              ;   in Loop: Header=BB2_987 Depth=3
	v_or_b32_e32 v87, 64, v87
	s_waitcnt vmcnt(0) lgkmcnt(0)
	s_waitcnt_vscnt null, 0x0
	ds_write_b32 v0, v10
	s_trap 2
.LBB2_999:                              ;   in Loop: Header=BB2_987 Depth=3
	s_or_b32 exec_lo, exec_lo, s16
.LBB2_1000:                             ;   in Loop: Header=BB2_987 Depth=3
	s_or_b32 exec_lo, exec_lo, s25
	v_and_b32_e32 v10, 0x108, v87
	s_mov_b32 s16, exec_lo
	;;#ASMSTART
	s_wakeup
	;;#ASMEND
	v_cmpx_ne_u32_e32 0x108, v10
	s_xor_b32 s16, exec_lo, s16
                                        ; implicit-def: $vgpr55
; %bb.1001:                             ;   in Loop: Header=BB2_987 Depth=3
	v_and_b32_e32 v55, 7, v38
                                        ; implicit-def: $vgpr38_vgpr39
; %bb.1002:                             ;   in Loop: Header=BB2_987 Depth=3
	s_andn2_saveexec_b32 s16, s16
	s_cbranch_execz .LBB2_1004
; %bb.1003:                             ;   in Loop: Header=BB2_987 Depth=3
	v_and_b32_e32 v55, 7, v38
	v_ashrrev_i32_e32 v53, 31, v52
	v_mad_u64_u32 v[10:11], null, v55, 24, v[6:7]
	v_lshlrev_b64 v[38:39], 3, v[52:53]
	flat_store_dwordx2 v[10:11], v[38:39] offset:8
.LBB2_1004:                             ;   in Loop: Header=BB2_987 Depth=3
	s_or_b32 exec_lo, exec_lo, s16
	v_and_b32_e32 v10, 0x100, v87
	s_mov_b32 s16, -1
	v_cmp_ne_u32_e32 vcc_lo, 0, v10
                                        ; implicit-def: $vgpr10_vgpr11
	s_and_saveexec_b32 s25, vcc_lo
	s_cbranch_execz .LBB2_1008
; %bb.1005:                             ;   in Loop: Header=BB2_987 Depth=3
	v_mad_u64_u32 v[38:39], null, v55, 24, v[6:7]
	v_mov_b32_e32 v10, v39
	v_mad_u64_u32 v[10:11], null, v3, 24, v[10:11]
	v_mov_b32_e32 v39, v10
	flat_load_dword v10, v[38:39]
	s_waitcnt vmcnt(0) lgkmcnt(0)
	v_cmp_eq_u32_e64 s16, 1, v10
	v_cmp_ne_u32_e32 vcc_lo, 1, v10
                                        ; implicit-def: $vgpr10_vgpr11
	s_and_saveexec_b32 s26, s16
	s_cbranch_execz .LBB2_1007
; %bb.1006:                             ;   in Loop: Header=BB2_987 Depth=3
	flat_load_dword v10, v[38:39] offset:4 glc dlc
	s_waitcnt vmcnt(0) lgkmcnt(0)
	v_ashrrev_i32_e32 v11, 31, v10
	v_lshrrev_b64 v[10:11], 3, v[10:11]
.LBB2_1007:                             ;   in Loop: Header=BB2_987 Depth=3
	s_or_b32 exec_lo, exec_lo, s26
	s_orn2_b32 s16, vcc_lo, exec_lo
.LBB2_1008:                             ;   in Loop: Header=BB2_987 Depth=3
	s_or_b32 exec_lo, exec_lo, s25
	s_and_saveexec_b32 s25, s16
; %bb.1009:                             ;   in Loop: Header=BB2_987 Depth=3
	v_mul_lo_u32 v38, v3, v96
	v_mul_lo_u32 v39, v55, v30
	v_mad_u64_u32 v[10:11], null, v55, v96, 0
	v_add3_u32 v11, v11, v39, v38
; %bb.1010:                             ;   in Loop: Header=BB2_987 Depth=3
	s_or_b32 exec_lo, exec_lo, s25
	v_cmp_eq_u32_e32 vcc_lo, 0, v2
	v_lshlrev_b64 v[10:11], 3, v[10:11]
	v_and_b32_e32 v38, 0x2000, v87
	s_mov_b32 s16, exec_lo
	v_cndmask_b32_e32 v2, 0xd0, v103, vcc_lo
	v_add_co_u32 v10, vcc_lo, v22, v10
	v_add_co_ci_u32_e64 v11, null, v23, v11, vcc_lo
	v_add_nc_u32_e32 v2, v0, v2
	ds_write_b64 v2, v[10:11] offset:584
	v_cmpx_ne_u32_e32 0, v38
	s_cbranch_execz .LBB2_1012
; %bb.1011:                             ;   in Loop: Header=BB2_987 Depth=3
	ds_read_b64 v[10:11], v0 offset:872
	s_waitcnt lgkmcnt(0)
	v_add_co_u32 v10, vcc_lo, v10, 1
	v_add_co_ci_u32_e64 v11, null, 0, v11, vcc_lo
	ds_write_b64 v0, v[10:11] offset:872
.LBB2_1012:                             ;   in Loop: Header=BB2_987 Depth=3
	s_or_b32 exec_lo, exec_lo, s16
	v_mov_b32_e32 v39, v9
	v_mov_b32_e32 v38, v8
.LBB2_1013:                             ;   in Loop: Header=BB2_987 Depth=3
	s_or_b32 exec_lo, exec_lo, s22
	s_xor_b32 s16, s19, -1
	s_and_b32 s16, exec_lo, s16
	s_or_b32 s18, s16, s18
	s_and_saveexec_b32 s16, s6
	s_cbranch_execz .LBB2_1032
; %bb.1014:                             ;   in Loop: Header=BB2_987 Depth=3
	s_and_saveexec_b32 s19, s44
	s_xor_b32 s19, exec_lo, s19
	s_cbranch_execz .LBB2_1029
; %bb.1015:                             ;   in Loop: Header=BB2_987 Depth=3
	s_and_saveexec_b32 s22, s11
	s_cbranch_execz .LBB2_1028
; %bb.1016:                             ;   in Loop: Header=BB2_987 Depth=3
	s_mov_b32 s26, exec_lo
	s_mov_b32 s25, exec_lo
	v_mbcnt_lo_u32_b32 v2, s26, 0
	s_waitcnt vmcnt(0) lgkmcnt(0)
	s_waitcnt_vscnt null, 0x0
	buffer_gl1_inv
	buffer_gl0_inv
	v_cmpx_eq_u32_e32 0, v2
	s_cbranch_execz .LBB2_1018
; %bb.1017:                             ;   in Loop: Header=BB2_987 Depth=3
	s_bcnt1_i32_b32 s26, s26
	v_mov_b32_e32 v2, s26
	ds_add_u64 v0, v[2:3]
	s_trap 2
.LBB2_1018:                             ;   in Loop: Header=BB2_987 Depth=3
	s_or_b32 exec_lo, exec_lo, s25
	s_trap 2
	ds_read_b64 v[8:9], v0
	s_waitcnt lgkmcnt(0)
	buffer_gl0_inv
	v_add_co_u32 v12, vcc_lo, v12, v97
	v_add_co_ci_u32_e64 v13, null, 0, v13, vcc_lo
	s_mov_b32 s25, exec_lo
	v_cmpx_lt_u64_e64 v[8:9], v[12:13]
	s_cbranch_execz .LBB2_1027
; %bb.1019:                             ;   in Loop: Header=BB2_987 Depth=3
	s_mov_b32 s26, 0
	s_mov_b32 s29, 0
                                        ; implicit-def: $sgpr27
                                        ; implicit-def: $sgpr28
	s_inst_prefetch 0x1
	s_branch .LBB2_1021
	.p2align	6
.LBB2_1020:                             ;   in Loop: Header=BB2_1021 Depth=4
	s_or_b32 exec_lo, exec_lo, s76
	s_and_b32 s75, exec_lo, s77
	s_or_b32 s26, s75, s26
	s_andn2_b32 s27, s27, exec_lo
	s_and_b32 s75, s28, exec_lo
	s_or_b32 s27, s27, s75
	s_andn2_b32 exec_lo, exec_lo, s26
	s_cbranch_execz .LBB2_1025
.LBB2_1021:                             ;   Parent Loop BB2_47 Depth=1
                                        ;     Parent Loop BB2_799 Depth=2
                                        ;       Parent Loop BB2_987 Depth=3
                                        ; =>      This Inner Loop Header: Depth=4
	s_add_i32 s29, s29, 1
	s_cmpk_lg_i32 s29, 0x2710
	s_cselect_b32 s75, -1, 0
	s_and_b32 vcc_lo, exec_lo, s75
	s_cbranch_vccz .LBB2_1023
; %bb.1022:                             ;   in Loop: Header=BB2_1021 Depth=4
	s_mov_b32 s77, -1
	s_or_b32 s28, s28, exec_lo
	s_and_saveexec_b32 s76, s75
	s_cbranch_execz .LBB2_1020
	s_branch .LBB2_1024
	.p2align	6
.LBB2_1023:                             ;   in Loop: Header=BB2_1021 Depth=4
	s_trap 2
	ds_read_b64 v[8:9], v0
	s_andn2_b32 s75, s75, exec_lo
	s_mov_b32 s29, 0
	s_waitcnt lgkmcnt(0)
	flat_load_dword v2, v[8:9] glc dlc
	s_waitcnt vmcnt(0) lgkmcnt(0)
	buffer_gl1_inv
	buffer_gl0_inv
	v_cmp_eq_u32_e32 vcc_lo, 0, v2
	s_and_b32 s76, vcc_lo, exec_lo
	s_or_b32 s75, s75, s76
	s_mov_b32 s77, -1
	s_or_b32 s28, s28, exec_lo
	s_and_saveexec_b32 s76, s75
	s_cbranch_execz .LBB2_1020
.LBB2_1024:                             ;   in Loop: Header=BB2_1021 Depth=4
	s_sleep 1
	s_trap 2
	ds_read_b64 v[8:9], v0
	s_waitcnt lgkmcnt(0)
	buffer_gl0_inv
	s_andn2_b32 s28, s28, exec_lo
	v_cmp_ge_u64_e32 vcc_lo, v[8:9], v[12:13]
	s_orn2_b32 s77, vcc_lo, exec_lo
	s_branch .LBB2_1020
.LBB2_1025:                             ;   in Loop: Header=BB2_987 Depth=3
	s_inst_prefetch 0x2
	s_or_b32 exec_lo, exec_lo, s26
	s_and_saveexec_b32 s26, s27
	s_xor_b32 s26, exec_lo, s26
	s_cbranch_execz .LBB2_1027
; %bb.1026:                             ;   in Loop: Header=BB2_987 Depth=3
	ds_write_b32 v0, v101
	s_trap 2
.LBB2_1027:                             ;   in Loop: Header=BB2_987 Depth=3
	s_or_b32 exec_lo, exec_lo, s25
	;;#ASMSTART
	s_wakeup
	;;#ASMEND
.LBB2_1028:                             ;   in Loop: Header=BB2_987 Depth=3
	s_or_b32 exec_lo, exec_lo, s22
.LBB2_1029:                             ;   in Loop: Header=BB2_987 Depth=3
	s_andn2_saveexec_b32 s19, s19
	s_cbranch_execz .LBB2_1031
; %bb.1030:                             ;   in Loop: Header=BB2_987 Depth=3
	s_waitcnt vmcnt(0) lgkmcnt(0)
	s_waitcnt_vscnt null, 0x0
	buffer_gl1_inv
	buffer_gl0_inv
	s_barrier
.LBB2_1031:                             ;   in Loop: Header=BB2_987 Depth=3
	s_or_b32 exec_lo, exec_lo, s19
.LBB2_1032:                             ;   in Loop: Header=BB2_987 Depth=3
	s_or_b32 exec_lo, exec_lo, s16
                                        ; implicit-def: $vgpr2
	s_and_saveexec_b32 s16, s15
	s_xor_b32 s19, exec_lo, s16
	s_cbranch_execz .LBB2_1036
; %bb.1033:                             ;   in Loop: Header=BB2_987 Depth=3
	s_trap 2
	ds_read_b32 v2, v0
	v_cmp_lt_i32_e32 vcc_lo, 0, v52
	s_waitcnt lgkmcnt(0)
	v_readfirstlane_b32 s16, v2
	v_and_b32_e32 v2, 16, v87
	s_cmp_eq_u32 s16, 0
	v_cmp_ne_u32_e64 s16, 0, v2
	s_cselect_b32 s22, -1, 0
	v_and_b32_e32 v2, 16, v87
	s_and_b32 s22, vcc_lo, s22
	s_and_b32 s22, s16, s22
	s_and_saveexec_b32 s16, s22
	s_cbranch_execz .LBB2_1035
; %bb.1034:                             ;   in Loop: Header=BB2_987 Depth=3
	v_mov_b32_e32 v2, 1
	s_waitcnt vmcnt(0)
	s_waitcnt_vscnt null, 0x0
	buffer_gl1_inv
	buffer_gl0_inv
.LBB2_1035:                             ;   in Loop: Header=BB2_987 Depth=3
	s_or_b32 exec_lo, exec_lo, s16
	s_andn2_saveexec_b32 s16, s19
	s_cbranch_execz .LBB2_1055
	s_branch .LBB2_1037
.LBB2_1036:                             ;   in Loop: Header=BB2_987 Depth=3
	s_andn2_saveexec_b32 s16, s19
	s_cbranch_execz .LBB2_1055
.LBB2_1037:                             ;   in Loop: Header=BB2_987 Depth=3
	s_and_saveexec_b32 s19, s44
	s_xor_b32 s19, exec_lo, s19
	s_cbranch_execz .LBB2_1052
; %bb.1038:                             ;   in Loop: Header=BB2_987 Depth=3
	s_and_saveexec_b32 s22, s11
	s_cbranch_execz .LBB2_1051
; %bb.1039:                             ;   in Loop: Header=BB2_987 Depth=3
	s_mov_b32 s26, exec_lo
	s_mov_b32 s25, exec_lo
	v_mbcnt_lo_u32_b32 v2, s26, 0
	;;#ASMSTART
	s_waitcnt lgkmcnt(0) vmcnt(0)
	;;#ASMEND
	v_cmpx_eq_u32_e32 0, v2
	s_cbranch_execz .LBB2_1041
; %bb.1040:                             ;   in Loop: Header=BB2_987 Depth=3
	s_bcnt1_i32_b32 s26, s26
	v_mov_b32_e32 v2, s26
	s_waitcnt vmcnt(0) lgkmcnt(0)
	s_waitcnt_vscnt null, 0x0
	ds_add_u64 v0, v[2:3]
	s_trap 2
.LBB2_1041:                             ;   in Loop: Header=BB2_987 Depth=3
	s_or_b32 exec_lo, exec_lo, s25
	s_trap 2
	ds_read_b64 v[8:9], v0
	s_waitcnt vmcnt(0) lgkmcnt(0)
	buffer_gl0_inv
	v_add_co_u32 v12, vcc_lo, v12, v97
	v_add_co_ci_u32_e64 v13, null, 0, v13, vcc_lo
	s_mov_b32 s25, exec_lo
	v_cmpx_lt_u64_e64 v[8:9], v[12:13]
	s_cbranch_execz .LBB2_1050
; %bb.1042:                             ;   in Loop: Header=BB2_987 Depth=3
	s_mov_b32 s26, 0
	s_mov_b32 s29, 0
                                        ; implicit-def: $sgpr27
                                        ; implicit-def: $sgpr28
	s_inst_prefetch 0x1
	s_branch .LBB2_1044
	.p2align	6
.LBB2_1043:                             ;   in Loop: Header=BB2_1044 Depth=4
	s_or_b32 exec_lo, exec_lo, s76
	s_and_b32 s75, exec_lo, s77
	s_or_b32 s26, s75, s26
	s_andn2_b32 s27, s27, exec_lo
	s_and_b32 s75, s28, exec_lo
	s_or_b32 s27, s27, s75
	s_andn2_b32 exec_lo, exec_lo, s26
	s_cbranch_execz .LBB2_1048
.LBB2_1044:                             ;   Parent Loop BB2_47 Depth=1
                                        ;     Parent Loop BB2_799 Depth=2
                                        ;       Parent Loop BB2_987 Depth=3
                                        ; =>      This Inner Loop Header: Depth=4
	s_add_i32 s29, s29, 1
	s_cmpk_lg_i32 s29, 0x2710
	s_cselect_b32 s75, -1, 0
	s_and_b32 vcc_lo, exec_lo, s75
	s_cbranch_vccz .LBB2_1046
; %bb.1045:                             ;   in Loop: Header=BB2_1044 Depth=4
	s_mov_b32 s77, -1
	s_or_b32 s28, s28, exec_lo
	s_and_saveexec_b32 s76, s75
	s_cbranch_execz .LBB2_1043
	s_branch .LBB2_1047
	.p2align	6
.LBB2_1046:                             ;   in Loop: Header=BB2_1044 Depth=4
	s_trap 2
	ds_read_b64 v[8:9], v0
	s_andn2_b32 s75, s75, exec_lo
	s_mov_b32 s29, 0
	s_waitcnt lgkmcnt(0)
	s_waitcnt_vscnt null, 0x0
	flat_load_dword v2, v[8:9] glc dlc
	s_waitcnt vmcnt(0) lgkmcnt(0)
	buffer_gl1_inv
	buffer_gl0_inv
	v_cmp_eq_u32_e32 vcc_lo, 0, v2
	s_and_b32 s76, vcc_lo, exec_lo
	s_or_b32 s75, s75, s76
	s_mov_b32 s77, -1
	s_or_b32 s28, s28, exec_lo
	s_and_saveexec_b32 s76, s75
	s_cbranch_execz .LBB2_1043
.LBB2_1047:                             ;   in Loop: Header=BB2_1044 Depth=4
	s_sleep 1
	s_trap 2
	ds_read_b64 v[8:9], v0
	s_waitcnt lgkmcnt(0)
	buffer_gl0_inv
	s_andn2_b32 s28, s28, exec_lo
	v_cmp_ge_u64_e32 vcc_lo, v[8:9], v[12:13]
	s_orn2_b32 s77, vcc_lo, exec_lo
	s_branch .LBB2_1043
.LBB2_1048:                             ;   in Loop: Header=BB2_987 Depth=3
	s_inst_prefetch 0x2
	s_or_b32 exec_lo, exec_lo, s26
	s_and_saveexec_b32 s26, s27
	s_xor_b32 s26, exec_lo, s26
	s_cbranch_execz .LBB2_1050
; %bb.1049:                             ;   in Loop: Header=BB2_987 Depth=3
	ds_write_b32 v0, v101
	s_trap 2
.LBB2_1050:                             ;   in Loop: Header=BB2_987 Depth=3
	s_or_b32 exec_lo, exec_lo, s25
	;;#ASMSTART
	s_wakeup
	;;#ASMEND
.LBB2_1051:                             ;   in Loop: Header=BB2_987 Depth=3
	s_or_b32 exec_lo, exec_lo, s22
.LBB2_1052:                             ;   in Loop: Header=BB2_987 Depth=3
	s_andn2_saveexec_b32 s19, s19
	s_cbranch_execz .LBB2_1054
; %bb.1053:                             ;   in Loop: Header=BB2_987 Depth=3
	;;#ASMSTART
	s_waitcnt lgkmcnt(0) vmcnt(0)
	;;#ASMEND
	s_barrier
.LBB2_1054:                             ;   in Loop: Header=BB2_987 Depth=3
	s_or_b32 exec_lo, exec_lo, s19
	v_and_b32_e32 v2, 16, v87
.LBB2_1055:                             ;   in Loop: Header=BB2_987 Depth=3
	s_or_b32 exec_lo, exec_lo, s16
	v_cmp_ne_u32_e32 vcc_lo, 0, v2
	s_xor_b32 s16, s7, -1
	s_and_b32 s19, vcc_lo, s16
	s_and_saveexec_b32 s16, s19
	s_cbranch_execz .LBB2_1057
; %bb.1056:                             ;   in Loop: Header=BB2_987 Depth=3
	s_waitcnt vmcnt(0) lgkmcnt(0)
	s_waitcnt_vscnt null, 0x0
	flat_store_dword v[24:25], v101
.LBB2_1057:                             ;   in Loop: Header=BB2_987 Depth=3
	s_or_b32 exec_lo, exec_lo, s16
	v_and_b32_e32 v2, 48, v87
	s_mov_b32 s16, exec_lo
	v_cmpx_ne_u32_e32 0, v2
	s_cbranch_execz .LBB2_986
; %bb.1058:                             ;   in Loop: Header=BB2_987 Depth=3
	v_add_co_u32 v38, vcc_lo, v38, 2
	v_add_co_ci_u32_e64 v39, null, 0, v39, vcc_lo
	s_waitcnt vmcnt(0) lgkmcnt(0)
	s_waitcnt_vscnt null, 0x0
	flat_store_dwordx2 v[20:21], v[38:39]
	s_branch .LBB2_986
.LBB2_1059:                             ;   in Loop: Header=BB2_799 Depth=2
	s_or_b32 exec_lo, exec_lo, s18
.LBB2_1060:                             ;   in Loop: Header=BB2_799 Depth=2
	s_or_b32 exec_lo, exec_lo, s17
	s_add_i32 s16, s20, 1
	s_cmp_eq_u32 s20, s61
	s_cbranch_scc1 .LBB2_1062
; %bb.1061:                             ;   in Loop: Header=BB2_799 Depth=2
	s_mov_b32 s20, s16
	s_branch .LBB2_799
.LBB2_1062:                             ;   in Loop: Header=BB2_47 Depth=1
	v_mul_lo_u32 v2, v37, s63
	v_mul_lo_u32 v8, v36, s74
	v_mad_u64_u32 v[9:10], null, v36, s63, 0
	v_add3_u32 v10, v10, v8, v2
	v_sub_co_u32 v48, vcc_lo, v48, v9
	v_sub_co_ci_u32_e64 v49, null, v49, v10, vcc_lo
	v_cmp_lt_i64_e32 vcc_lo, v[36:37], v[48:49]
	v_cndmask_b32_e32 v8, v48, v36, vcc_lo
	v_max_i32_e32 v54, 0, v8
	v_cmp_lt_i32_e32 vcc_lo, 0, v8
	v_mov_b32_e32 v8, 0
	v_add_nc_u32_e32 v2, 31, v54
	s_and_b32 s16, s62, vcc_lo
	v_lshrrev_b32_e32 v2, 1, v2
	v_and_b32_e32 v11, 0x3ffffff0, v2
	v_mov_b32_e32 v2, 0
	v_max_i32_e32 v55, s58, v11
	s_and_saveexec_b32 s18, s16
	s_cbranch_execz .LBB2_1202
; %bb.1063:                             ;   in Loop: Header=BB2_47 Depth=1
	v_add_co_u32 v8, vcc_lo, v9, v50
	v_add_co_ci_u32_e64 v9, null, v10, v51, vcc_lo
	s_mov_b32 s22, 1
	s_mov_b32 s20, -1
	s_mov_b32 s19, 0
	v_lshlrev_b64 v[10:11], 3, v[8:9]
	v_mov_b32_e32 v8, 0
	s_branch .LBB2_1065
.LBB2_1064:                             ;   in Loop: Header=BB2_1065 Depth=2
	s_or_b32 exec_lo, exec_lo, s16
	v_add_nc_u32_e32 v8, v55, v8
	s_xor_b32 s16, s20, -1
	v_mov_b32_e32 v2, s22
	s_mov_b32 s20, 0
	s_mov_b32 s22, 2
	v_cmp_ge_i32_e32 vcc_lo, v8, v54
	s_or_b32 s16, s16, vcc_lo
	s_and_b32 s16, exec_lo, s16
	s_or_b32 s19, s16, s19
	s_andn2_b32 exec_lo, exec_lo, s19
	s_cbranch_execz .LBB2_1201
.LBB2_1065:                             ;   Parent Loop BB2_47 Depth=1
                                        ; =>  This Loop Header: Depth=2
                                        ;       Child Loop BB2_1073 Depth 3
                                        ;       Child Loop BB2_1097 Depth 3
	;; [unrolled: 1-line block ×9, first 2 shown]
	s_and_saveexec_b32 s17, s4
	s_cbranch_execz .LBB2_1067
; %bb.1066:                             ;   in Loop: Header=BB2_1065 Depth=2
	s_trap 2
	ds_read_b128 v[48:51], v0
	v_ashrrev_i32_e32 v9, 31, v8
	v_lshlrev_b64 v[52:53], 3, v[8:9]
	s_waitcnt lgkmcnt(0)
	v_add_co_u32 v2, vcc_lo, v50, v10
	v_add_co_ci_u32_e64 v9, null, v51, v11, vcc_lo
	v_add_co_u32 v48, vcc_lo, v48, v10
	v_add_co_ci_u32_e64 v49, null, v49, v11, vcc_lo
	;; [unrolled: 2-line block ×3, first 2 shown]
	v_cmp_ne_u64_e32 vcc_lo, 0, v[50:51]
	v_add_co_u32 v48, s16, v48, v52
	v_add_co_ci_u32_e64 v49, null, v49, v53, s16
	v_cndmask_b32_e32 v51, 0, v9, vcc_lo
	v_cndmask_b32_e32 v50, 0, v2, vcc_lo
	ds_write_b64 v0, v[48:49]
	ds_write_b64 v0, v[50:51]
.LBB2_1067:                             ;   in Loop: Header=BB2_1065 Depth=2
	s_or_b32 exec_lo, exec_lo, s17
	v_and_b32_e32 v2, 4, v87
	s_mov_b32 s17, exec_lo
	v_cmpx_ne_u32_e32 0, v2
	s_cbranch_execz .LBB2_1089
; %bb.1068:                             ;   in Loop: Header=BB2_1065 Depth=2
	v_add_co_u32 v48, vcc_lo, v38, 2
	v_add_co_ci_u32_e64 v49, null, 0, v39, vcc_lo
	s_mov_b32 s25, exec_lo
	s_waitcnt vmcnt(0) lgkmcnt(1)
	v_cmpx_lt_u64_e64 v[26:27], v[48:49]
	s_cbranch_execz .LBB2_1080
; %bb.1069:                             ;   in Loop: Header=BB2_1065 Depth=2
	v_and_b32_e32 v2, 64, v87
	s_mov_b32 s26, 0
	s_mov_b32 s75, 0
                                        ; implicit-def: $sgpr27
                                        ; implicit-def: $sgpr28
                                        ; implicit-def: $sgpr29
	v_cmp_eq_u32_e32 vcc_lo, 0, v2
	s_branch .LBB2_1073
.LBB2_1070:                             ;   in Loop: Header=BB2_1073 Depth=3
	s_waitcnt vmcnt(0) lgkmcnt(0)
	v_cmp_ge_u64_e64 s16, v[26:27], v[48:49]
	s_or_b32 s78, s78, exec_lo
	s_orn2_b32 s77, s16, exec_lo
.LBB2_1071:                             ;   in Loop: Header=BB2_1073 Depth=3
	s_or_b32 exec_lo, exec_lo, s88
	s_andn2_b32 s16, s29, exec_lo
	s_and_b32 s29, s78, exec_lo
	s_andn2_b32 s28, s28, exec_lo
	s_and_b32 s77, s77, exec_lo
	s_or_b32 s29, s16, s29
	s_or_b32 s28, s28, s77
.LBB2_1072:                             ;   in Loop: Header=BB2_1073 Depth=3
	s_or_b32 exec_lo, exec_lo, s76
	s_and_b32 s16, exec_lo, s28
	s_or_b32 s26, s16, s26
	s_andn2_b32 s16, s27, exec_lo
	s_and_b32 s27, s29, exec_lo
	s_or_b32 s27, s16, s27
	s_andn2_b32 exec_lo, exec_lo, s26
	s_cbranch_execz .LBB2_1077
.LBB2_1073:                             ;   Parent Loop BB2_47 Depth=1
                                        ;     Parent Loop BB2_1065 Depth=2
                                        ; =>    This Inner Loop Header: Depth=3
	s_sleep 1
	s_waitcnt vmcnt(0) lgkmcnt(0)
	flat_load_dwordx2 v[26:27], v[20:21] glc dlc
	s_or_b32 s29, s29, exec_lo
	s_or_b32 s28, s28, exec_lo
                                        ; implicit-def: $vgpr2
	s_and_saveexec_b32 s76, vcc_lo
	s_cbranch_execz .LBB2_1072
; %bb.1074:                             ;   in Loop: Header=BB2_1073 Depth=3
	s_cmpk_lt_i32 s75, 0x270f
	s_mov_b32 s77, -1
	s_cselect_b32 s79, -1, 0
	s_cmpk_gt_i32 s75, 0x270e
	s_cbranch_scc0 .LBB2_1076
; %bb.1075:                             ;   in Loop: Header=BB2_1073 Depth=3
	s_trap 2
	ds_read_b64 v[50:51], v0
	s_andn2_b32 s75, s79, exec_lo
	s_mov_b32 s78, 0
	s_waitcnt vmcnt(0) lgkmcnt(0)
	s_waitcnt_vscnt null, 0x0
	flat_load_dword v2, v[50:51] glc dlc
	s_waitcnt vmcnt(0) lgkmcnt(0)
	buffer_gl1_inv
	buffer_gl0_inv
	v_cmp_eq_u32_e64 s16, 0, v2
	s_and_b32 s16, s16, exec_lo
	s_or_b32 s79, s75, s16
	s_mov_b32 s75, 0
	s_and_saveexec_b32 s88, s79
	s_cbranch_execz .LBB2_1071
	s_branch .LBB2_1070
.LBB2_1076:                             ;   in Loop: Header=BB2_1073 Depth=3
	s_add_i32 s75, s75, 1
	s_mov_b32 s78, -1
                                        ; implicit-def: $vgpr2
	s_and_saveexec_b32 s88, s79
	s_cbranch_execz .LBB2_1071
	s_branch .LBB2_1070
.LBB2_1077:                             ;   in Loop: Header=BB2_1065 Depth=2
	s_or_b32 exec_lo, exec_lo, s26
	s_xor_b32 s16, s27, -1
	s_and_saveexec_b32 s26, s16
	s_xor_b32 s16, exec_lo, s26
	s_cbranch_execz .LBB2_1079
; %bb.1078:                             ;   in Loop: Header=BB2_1065 Depth=2
	v_or_b32_e32 v87, 64, v87
	s_waitcnt vmcnt(0) lgkmcnt(0)
	s_waitcnt_vscnt null, 0x0
	ds_write_b32 v0, v2
	s_trap 2
.LBB2_1079:                             ;   in Loop: Header=BB2_1065 Depth=2
	s_or_b32 exec_lo, exec_lo, s16
.LBB2_1080:                             ;   in Loop: Header=BB2_1065 Depth=2
	s_or_b32 exec_lo, exec_lo, s25
	v_and_b32_e32 v2, 0x100, v87
	s_mov_b32 s16, -1
	;;#ASMSTART
	s_wakeup
	;;#ASMEND
	v_cmp_ne_u32_e32 vcc_lo, 0, v2
	v_and_b32_e32 v2, 7, v38
                                        ; implicit-def: $vgpr38_vgpr39
	s_and_saveexec_b32 s25, vcc_lo
	s_cbranch_execz .LBB2_1084
; %bb.1081:                             ;   in Loop: Header=BB2_1065 Depth=2
	v_mad_u64_u32 v[50:51], null, v2, 24, v[6:7]
	s_mov_b32 s26, exec_lo
                                        ; implicit-def: $vgpr38_vgpr39
	flat_load_dword v9, v[50:51]
	s_waitcnt vmcnt(0) lgkmcnt(0)
	v_cmp_ne_u32_e32 vcc_lo, 1, v9
	v_cmpx_eq_u32_e32 1, v9
	s_cbranch_execz .LBB2_1083
; %bb.1082:                             ;   in Loop: Header=BB2_1065 Depth=2
	flat_load_dword v38, v[50:51] offset:4 glc dlc
	s_waitcnt vmcnt(0) lgkmcnt(0)
	v_ashrrev_i32_e32 v39, 31, v38
	v_lshrrev_b64 v[38:39], 3, v[38:39]
.LBB2_1083:                             ;   in Loop: Header=BB2_1065 Depth=2
	s_or_b32 exec_lo, exec_lo, s26
	s_orn2_b32 s16, vcc_lo, exec_lo
.LBB2_1084:                             ;   in Loop: Header=BB2_1065 Depth=2
	s_or_b32 exec_lo, exec_lo, s25
	s_and_saveexec_b32 s25, s16
; %bb.1085:                             ;   in Loop: Header=BB2_1065 Depth=2
	v_mad_i64_i32 v[38:39], null, v2, v96, 0
; %bb.1086:                             ;   in Loop: Header=BB2_1065 Depth=2
	s_or_b32 exec_lo, exec_lo, s25
	v_lshlrev_b64 v[38:39], 3, v[38:39]
	v_and_b32_e32 v2, 0x2000, v87
	s_mov_b32 s16, exec_lo
	v_add_co_u32 v38, vcc_lo, v22, v38
	v_add_co_ci_u32_e64 v39, null, v23, v39, vcc_lo
	ds_write_b64 v0, v[38:39] offset:720
	v_cmpx_ne_u32_e32 0, v2
	s_cbranch_execz .LBB2_1088
; %bb.1087:                             ;   in Loop: Header=BB2_1065 Depth=2
	ds_read_b64 v[38:39], v0 offset:872
	s_waitcnt lgkmcnt(0)
	v_add_co_u32 v38, vcc_lo, v38, 1
	v_add_co_ci_u32_e64 v39, null, 0, v39, vcc_lo
	ds_write_b64 v0, v[38:39] offset:872
.LBB2_1088:                             ;   in Loop: Header=BB2_1065 Depth=2
	s_or_b32 exec_lo, exec_lo, s16
	v_mov_b32_e32 v38, v48
	v_mov_b32_e32 v39, v49
.LBB2_1089:                             ;   in Loop: Header=BB2_1065 Depth=2
	s_or_b32 exec_lo, exec_lo, s17
	s_and_saveexec_b32 s16, s6
	s_cbranch_execz .LBB2_1108
; %bb.1090:                             ;   in Loop: Header=BB2_1065 Depth=2
	s_and_saveexec_b32 s17, s44
	s_xor_b32 s17, exec_lo, s17
	s_cbranch_execz .LBB2_1105
; %bb.1091:                             ;   in Loop: Header=BB2_1065 Depth=2
	s_and_saveexec_b32 s25, s11
	s_cbranch_execz .LBB2_1104
; %bb.1092:                             ;   in Loop: Header=BB2_1065 Depth=2
	s_mov_b32 s27, exec_lo
	s_mov_b32 s26, exec_lo
	v_mbcnt_lo_u32_b32 v2, s27, 0
	s_waitcnt vmcnt(0) lgkmcnt(0)
	s_waitcnt_vscnt null, 0x0
	buffer_gl1_inv
	buffer_gl0_inv
	v_cmpx_eq_u32_e32 0, v2
	s_cbranch_execz .LBB2_1094
; %bb.1093:                             ;   in Loop: Header=BB2_1065 Depth=2
	s_bcnt1_i32_b32 s27, s27
	v_mov_b32_e32 v2, s27
	ds_add_u64 v0, v[2:3]
	s_trap 2
.LBB2_1094:                             ;   in Loop: Header=BB2_1065 Depth=2
	s_or_b32 exec_lo, exec_lo, s26
	s_trap 2
	ds_read_b64 v[48:49], v0
	s_waitcnt lgkmcnt(0)
	buffer_gl0_inv
	v_add_co_u32 v12, vcc_lo, v12, v97
	v_add_co_ci_u32_e64 v13, null, 0, v13, vcc_lo
	s_mov_b32 s26, exec_lo
	v_cmpx_lt_u64_e64 v[48:49], v[12:13]
	s_cbranch_execz .LBB2_1103
; %bb.1095:                             ;   in Loop: Header=BB2_1065 Depth=2
	s_mov_b32 s27, 0
	s_mov_b32 s75, 0
                                        ; implicit-def: $sgpr28
                                        ; implicit-def: $sgpr29
	s_inst_prefetch 0x1
	s_branch .LBB2_1097
	.p2align	6
.LBB2_1096:                             ;   in Loop: Header=BB2_1097 Depth=3
	s_or_b32 exec_lo, exec_lo, s77
	s_and_b32 s76, exec_lo, s78
	s_or_b32 s27, s76, s27
	s_andn2_b32 s28, s28, exec_lo
	s_and_b32 s76, s29, exec_lo
	s_or_b32 s28, s28, s76
	s_andn2_b32 exec_lo, exec_lo, s27
	s_cbranch_execz .LBB2_1101
.LBB2_1097:                             ;   Parent Loop BB2_47 Depth=1
                                        ;     Parent Loop BB2_1065 Depth=2
                                        ; =>    This Inner Loop Header: Depth=3
	s_add_i32 s75, s75, 1
	s_cmpk_lg_i32 s75, 0x2710
	s_cselect_b32 s76, -1, 0
	s_and_b32 vcc_lo, exec_lo, s76
	s_cbranch_vccz .LBB2_1099
; %bb.1098:                             ;   in Loop: Header=BB2_1097 Depth=3
	s_mov_b32 s78, -1
	s_or_b32 s29, s29, exec_lo
	s_and_saveexec_b32 s77, s76
	s_cbranch_execz .LBB2_1096
	s_branch .LBB2_1100
	.p2align	6
.LBB2_1099:                             ;   in Loop: Header=BB2_1097 Depth=3
	s_trap 2
	ds_read_b64 v[48:49], v0
	s_andn2_b32 s76, s76, exec_lo
	s_mov_b32 s75, 0
	s_waitcnt lgkmcnt(0)
	flat_load_dword v2, v[48:49] glc dlc
	s_waitcnt vmcnt(0) lgkmcnt(0)
	buffer_gl1_inv
	buffer_gl0_inv
	v_cmp_eq_u32_e32 vcc_lo, 0, v2
	s_and_b32 s77, vcc_lo, exec_lo
	s_or_b32 s76, s76, s77
	s_mov_b32 s78, -1
	s_or_b32 s29, s29, exec_lo
	s_and_saveexec_b32 s77, s76
	s_cbranch_execz .LBB2_1096
.LBB2_1100:                             ;   in Loop: Header=BB2_1097 Depth=3
	s_sleep 1
	s_trap 2
	ds_read_b64 v[48:49], v0
	s_waitcnt lgkmcnt(0)
	buffer_gl0_inv
	s_andn2_b32 s29, s29, exec_lo
	v_cmp_ge_u64_e32 vcc_lo, v[48:49], v[12:13]
	s_orn2_b32 s78, vcc_lo, exec_lo
	s_branch .LBB2_1096
.LBB2_1101:                             ;   in Loop: Header=BB2_1065 Depth=2
	s_inst_prefetch 0x2
	s_or_b32 exec_lo, exec_lo, s27
	s_and_saveexec_b32 s27, s28
	s_xor_b32 s27, exec_lo, s27
	s_cbranch_execz .LBB2_1103
; %bb.1102:                             ;   in Loop: Header=BB2_1065 Depth=2
	ds_write_b32 v0, v101
	s_trap 2
.LBB2_1103:                             ;   in Loop: Header=BB2_1065 Depth=2
	s_or_b32 exec_lo, exec_lo, s26
	;;#ASMSTART
	s_wakeup
	;;#ASMEND
.LBB2_1104:                             ;   in Loop: Header=BB2_1065 Depth=2
	s_or_b32 exec_lo, exec_lo, s25
.LBB2_1105:                             ;   in Loop: Header=BB2_1065 Depth=2
	s_andn2_saveexec_b32 s17, s17
	s_cbranch_execz .LBB2_1107
; %bb.1106:                             ;   in Loop: Header=BB2_1065 Depth=2
	s_waitcnt vmcnt(0) lgkmcnt(0)
	s_waitcnt_vscnt null, 0x0
	buffer_gl1_inv
	buffer_gl0_inv
	s_barrier
.LBB2_1107:                             ;   in Loop: Header=BB2_1065 Depth=2
	s_or_b32 exec_lo, exec_lo, s17
.LBB2_1108:                             ;   in Loop: Header=BB2_1065 Depth=2
	s_or_b32 exec_lo, exec_lo, s16
	s_trap 2
	ds_read_b32 v9, v0
	v_and_b32_e32 v2, 0x4000, v87
	s_xor_b32 s16, s5, -1
	v_cmp_ne_u32_e32 vcc_lo, 0, v2
	s_and_b32 s17, s16, vcc_lo
	s_and_saveexec_b32 s16, s17
	s_cbranch_execz .LBB2_1127
; %bb.1109:                             ;   in Loop: Header=BB2_1065 Depth=2
	s_and_saveexec_b32 s17, s44
	s_xor_b32 s17, exec_lo, s17
	s_cbranch_execz .LBB2_1124
; %bb.1110:                             ;   in Loop: Header=BB2_1065 Depth=2
	s_and_saveexec_b32 s25, s11
	s_cbranch_execz .LBB2_1123
; %bb.1111:                             ;   in Loop: Header=BB2_1065 Depth=2
	s_mov_b32 s27, exec_lo
	s_mov_b32 s26, exec_lo
	v_mbcnt_lo_u32_b32 v2, s27, 0
	s_waitcnt vmcnt(0) lgkmcnt(0)
	s_waitcnt_vscnt null, 0x0
	buffer_gl1_inv
	buffer_gl0_inv
	v_cmpx_eq_u32_e32 0, v2
	s_cbranch_execz .LBB2_1113
; %bb.1112:                             ;   in Loop: Header=BB2_1065 Depth=2
	s_bcnt1_i32_b32 s27, s27
	v_mov_b32_e32 v2, s27
	ds_add_u64 v0, v[2:3]
	s_trap 2
.LBB2_1113:                             ;   in Loop: Header=BB2_1065 Depth=2
	s_or_b32 exec_lo, exec_lo, s26
	s_trap 2
	ds_read_b64 v[48:49], v0
	s_waitcnt lgkmcnt(0)
	buffer_gl0_inv
	v_add_co_u32 v12, vcc_lo, v12, v97
	v_add_co_ci_u32_e64 v13, null, 0, v13, vcc_lo
	s_mov_b32 s26, exec_lo
	v_cmpx_lt_u64_e64 v[48:49], v[12:13]
	s_cbranch_execz .LBB2_1122
; %bb.1114:                             ;   in Loop: Header=BB2_1065 Depth=2
	s_mov_b32 s27, 0
	s_mov_b32 s75, 0
                                        ; implicit-def: $sgpr28
                                        ; implicit-def: $sgpr29
	s_inst_prefetch 0x1
	s_branch .LBB2_1116
	.p2align	6
.LBB2_1115:                             ;   in Loop: Header=BB2_1116 Depth=3
	s_or_b32 exec_lo, exec_lo, s77
	s_and_b32 s76, exec_lo, s78
	s_or_b32 s27, s76, s27
	s_andn2_b32 s28, s28, exec_lo
	s_and_b32 s76, s29, exec_lo
	s_or_b32 s28, s28, s76
	s_andn2_b32 exec_lo, exec_lo, s27
	s_cbranch_execz .LBB2_1120
.LBB2_1116:                             ;   Parent Loop BB2_47 Depth=1
                                        ;     Parent Loop BB2_1065 Depth=2
                                        ; =>    This Inner Loop Header: Depth=3
	s_add_i32 s75, s75, 1
	s_cmpk_lg_i32 s75, 0x2710
	s_cselect_b32 s76, -1, 0
	s_and_b32 vcc_lo, exec_lo, s76
	s_cbranch_vccz .LBB2_1118
; %bb.1117:                             ;   in Loop: Header=BB2_1116 Depth=3
	s_mov_b32 s78, -1
	s_or_b32 s29, s29, exec_lo
	s_and_saveexec_b32 s77, s76
	s_cbranch_execz .LBB2_1115
	s_branch .LBB2_1119
	.p2align	6
.LBB2_1118:                             ;   in Loop: Header=BB2_1116 Depth=3
	s_trap 2
	ds_read_b64 v[48:49], v0
	s_andn2_b32 s76, s76, exec_lo
	s_mov_b32 s75, 0
	s_waitcnt lgkmcnt(0)
	flat_load_dword v2, v[48:49] glc dlc
	s_waitcnt vmcnt(0) lgkmcnt(0)
	buffer_gl1_inv
	buffer_gl0_inv
	v_cmp_eq_u32_e32 vcc_lo, 0, v2
	s_and_b32 s77, vcc_lo, exec_lo
	s_or_b32 s76, s76, s77
	s_mov_b32 s78, -1
	s_or_b32 s29, s29, exec_lo
	s_and_saveexec_b32 s77, s76
	s_cbranch_execz .LBB2_1115
.LBB2_1119:                             ;   in Loop: Header=BB2_1116 Depth=3
	s_sleep 1
	s_trap 2
	ds_read_b64 v[48:49], v0
	s_waitcnt lgkmcnt(0)
	buffer_gl0_inv
	s_andn2_b32 s29, s29, exec_lo
	v_cmp_ge_u64_e32 vcc_lo, v[48:49], v[12:13]
	s_orn2_b32 s78, vcc_lo, exec_lo
	s_branch .LBB2_1115
.LBB2_1120:                             ;   in Loop: Header=BB2_1065 Depth=2
	s_inst_prefetch 0x2
	s_or_b32 exec_lo, exec_lo, s27
	s_and_saveexec_b32 s27, s28
	s_xor_b32 s27, exec_lo, s27
	s_cbranch_execz .LBB2_1122
; %bb.1121:                             ;   in Loop: Header=BB2_1065 Depth=2
	ds_write_b32 v0, v101
	s_trap 2
.LBB2_1122:                             ;   in Loop: Header=BB2_1065 Depth=2
	s_or_b32 exec_lo, exec_lo, s26
	;;#ASMSTART
	s_wakeup
	;;#ASMEND
.LBB2_1123:                             ;   in Loop: Header=BB2_1065 Depth=2
	s_or_b32 exec_lo, exec_lo, s25
.LBB2_1124:                             ;   in Loop: Header=BB2_1065 Depth=2
	s_andn2_saveexec_b32 s17, s17
	s_cbranch_execz .LBB2_1126
; %bb.1125:                             ;   in Loop: Header=BB2_1065 Depth=2
	s_waitcnt vmcnt(0) lgkmcnt(0)
	s_waitcnt_vscnt null, 0x0
	buffer_gl1_inv
	buffer_gl0_inv
	s_barrier
.LBB2_1126:                             ;   in Loop: Header=BB2_1065 Depth=2
	s_or_b32 exec_lo, exec_lo, s17
.LBB2_1127:                             ;   in Loop: Header=BB2_1065 Depth=2
	s_or_b32 exec_lo, exec_lo, s16
	s_trap 2
	ds_read_b64 v[48:49], v0
	v_sub_nc_u32_e32 v2, v54, v8
	v_min_i32_e32 v55, v55, v2
	s_waitcnt lgkmcnt(0)
	v_cmp_eq_u64_e32 vcc_lo, 0, v[48:49]
	s_cbranch_vccnz .LBB2_1135
; %bb.1128:                             ;   in Loop: Header=BB2_1065 Depth=2
	s_trap 2
	ds_read_b64 v[50:51], v0
	s_waitcnt lgkmcnt(0)
	v_cmp_eq_u64_e32 vcc_lo, 0, v[50:51]
	s_cbranch_vccnz .LBB2_1135
; %bb.1129:                             ;   in Loop: Header=BB2_1065 Depth=2
	s_mov_b32 s16, -1
	s_and_saveexec_b32 s17, s13
	s_cbranch_execz .LBB2_1131
; %bb.1130:                             ;   in Loop: Header=BB2_1065 Depth=2
	ds_read_b32 v2, v0 offset:720
	s_waitcnt lgkmcnt(0)
	v_and_b32_e32 v2, 15, v2
	v_cmp_eq_u32_e32 vcc_lo, 0, v2
	s_orn2_b32 s16, vcc_lo, exec_lo
.LBB2_1131:                             ;   in Loop: Header=BB2_1065 Depth=2
	s_or_b32 exec_lo, exec_lo, s17
	s_and_saveexec_b32 s17, s12
	s_cbranch_execz .LBB2_1133
; %bb.1132:                             ;   in Loop: Header=BB2_1065 Depth=2
	ds_read_b32 v2, v0 offset:784
	s_waitcnt lgkmcnt(0)
	v_and_b32_e32 v2, 15, v2
	v_cmp_eq_u32_e32 vcc_lo, 0, v2
	s_and_b32 s25, s16, vcc_lo
	s_andn2_b32 s16, s16, exec_lo
	s_and_b32 s25, s25, exec_lo
	s_or_b32 s16, s16, s25
.LBB2_1133:                             ;   in Loop: Header=BB2_1065 Depth=2
	s_or_b32 exec_lo, exec_lo, s17
	v_cmp_eq_u32_e32 vcc_lo, 0, v9
	s_xor_b32 s16, s16, -1
	v_cndmask_b32_e64 v52, 0, 1, s16
	s_mov_b32 s16, -1
	v_cndmask_b32_e32 v2, 0, v55, vcc_lo
	v_cmp_ne_u32_e32 vcc_lo, 0, v52
	v_mov_b32_e32 v52, 0
	v_lshlrev_b32_e32 v9, 3, v2
	s_cbranch_vccz .LBB2_1140
; %bb.1134:                             ;   in Loop: Header=BB2_1065 Depth=2
	v_mov_b32_e32 v69, v0
	v_mov_b32_e32 v53, v98
	s_and_saveexec_b32 s25, s16
	s_cbranch_execnz .LBB2_1153
	s_branch .LBB2_1161
.LBB2_1135:                             ;   in Loop: Header=BB2_1065 Depth=2
	s_mov_b32 s16, 0
	s_and_saveexec_b32 s17, s6
	s_cbranch_execnz .LBB2_1162
.LBB2_1136:                             ;   in Loop: Header=BB2_1065 Depth=2
	s_or_b32 exec_lo, exec_lo, s17
	s_and_saveexec_b32 s17, s15
	s_xor_b32 s17, exec_lo, s17
	s_cbranch_execz .LBB2_1180
.LBB2_1137:                             ;   in Loop: Header=BB2_1065 Depth=2
	v_and_b32_e32 v2, 16, v87
	v_cmp_ne_u32_e32 vcc_lo, 0, v2
	s_and_b32 s25, vcc_lo, s16
	s_and_saveexec_b32 s16, s25
	s_cbranch_execz .LBB2_1139
; %bb.1138:                             ;   in Loop: Header=BB2_1065 Depth=2
	s_waitcnt vmcnt(0) lgkmcnt(0)
	s_waitcnt_vscnt null, 0x0
	buffer_gl1_inv
	buffer_gl0_inv
.LBB2_1139:                             ;   in Loop: Header=BB2_1065 Depth=2
	s_or_b32 exec_lo, exec_lo, s16
	s_andn2_saveexec_b32 s16, s17
	s_cbranch_execz .LBB2_1199
	s_branch .LBB2_1181
.LBB2_1140:                             ;   in Loop: Header=BB2_1065 Depth=2
	v_ashrrev_i32_e32 v52, 31, v9
	s_mov_b32 s17, exec_lo
	v_lshrrev_b32_e32 v52, 22, v52
	v_add_nc_u32_e32 v52, v9, v52
	v_ashrrev_i32_e32 v64, 10, v52
	v_sub_nc_u32_e32 v65, v64, v99
	v_cmpx_lt_i32_e32 0, v65
	s_cbranch_execz .LBB2_1144
; %bb.1141:                             ;   in Loop: Header=BB2_1065 Depth=2
	v_mov_b32_e32 v53, v35
	v_mov_b32_e32 v52, v34
	s_mov_b32 s25, 0
	.p2align	6
.LBB2_1142:                             ;   Parent Loop BB2_47 Depth=1
                                        ;     Parent Loop BB2_1065 Depth=2
                                        ; =>    This Inner Loop Header: Depth=3
	v_add_co_u32 v70, vcc_lo, v48, v52
	v_add_co_ci_u32_e64 v71, null, v49, v53, vcc_lo
	v_sub_nc_u32_e32 v65, v65, v97
	s_clause 0x1
	global_load_dwordx4 v[66:69], v[70:71], off slc
	global_load_dwordx4 v[80:83], v[70:71], off offset:512 slc
	v_add_co_u32 v70, vcc_lo, v50, v52
	v_add_co_ci_u32_e64 v71, null, v51, v53, vcc_lo
	v_cmp_gt_i32_e32 vcc_lo, 1, v65
	v_add_co_u32 v52, s16, v52, v112
	v_add_co_ci_u32_e64 v53, null, 0, v53, s16
	s_or_b32 s25, vcc_lo, s25
	s_waitcnt vmcnt(1)
	global_store_dwordx4 v[70:71], v[66:69], off glc slc
	s_waitcnt vmcnt(0)
	global_store_dwordx4 v[70:71], v[80:83], off offset:512 glc slc
	s_andn2_b32 exec_lo, exec_lo, s25
	s_cbranch_execnz .LBB2_1142
; %bb.1143:                             ;   in Loop: Header=BB2_1065 Depth=2
	s_or_b32 exec_lo, exec_lo, s25
.LBB2_1144:                             ;   in Loop: Header=BB2_1065 Depth=2
	s_or_b32 exec_lo, exec_lo, s17
	v_lshlrev_b32_e32 v64, 10, v64
	v_mov_b32_e32 v52, 0
	s_mov_b32 s16, 0
	s_mov_b32 s25, exec_lo
                                        ; implicit-def: $vgpr69
                                        ; implicit-def: $vgpr53
	v_cmpx_ne_u32_e64 v9, v64
	s_cbranch_execz .LBB2_1152
; %bb.1145:                             ;   in Loop: Header=BB2_1065 Depth=2
	v_lshlrev_b32_e32 v52, 5, v65
	v_sub_nc_u32_e32 v68, v9, v64
	s_mov_b32 s26, exec_lo
	v_sub_nc_u32_e32 v52, v98, v52
	v_ashrrev_i32_e32 v65, 31, v68
	v_ashrrev_i32_e32 v53, 31, v52
	v_lshrrev_b32_e32 v65, 23, v65
	v_lshrrev_b32_e32 v53, 27, v53
	v_add_nc_u32_e32 v69, v68, v65
	v_add_nc_u32_e32 v53, v52, v53
	v_and_b32_e32 v65, 0xfffffe00, v69
	v_ashrrev_i32_e32 v69, 9, v69
	v_and_b32_e32 v66, 0xffffffe0, v53
	v_sub_nc_u32_e32 v67, v68, v65
	v_ashrrev_i32_e32 v70, 5, v53
	v_sub_nc_u32_e32 v66, v52, v66
	v_cmp_lt_i32_e32 vcc_lo, 15, v67
	v_lshlrev_b32_e32 v52, 4, v66
	v_add_co_ci_u32_e64 v69, null, 0, v69, vcc_lo
	v_lshl_add_u32 v53, v70, 9, v52
	v_sub_nc_u32_e32 v52, v68, v53
	v_sub_nc_u32_e32 v68, v69, v70
	v_cmpx_lt_i32_e32 15, v52
	s_cbranch_execz .LBB2_1149
; %bb.1146:                             ;   in Loop: Header=BB2_1065 Depth=2
	v_add_nc_u32_e32 v53, v53, v64
	s_mov_b32 s27, 0
	v_ashrrev_i32_e32 v69, 31, v53
	.p2align	6
.LBB2_1147:                             ;   Parent Loop BB2_47 Depth=1
                                        ;     Parent Loop BB2_1065 Depth=2
                                        ; =>    This Inner Loop Header: Depth=3
	v_add_co_u32 v70, s16, v48, v53
	v_add_co_ci_u32_e64 v71, null, v49, v69, s16
	v_sub_nc_u32_e32 v52, v52, v113
	v_sub_nc_u32_e32 v68, v68, v97
	global_load_dwordx4 v[80:83], v[70:71], off slc
	v_add_co_u32 v70, s16, v50, v53
	v_add_co_ci_u32_e64 v71, null, v51, v69, s16
	v_cmp_gt_i32_e64 s16, 16, v52
	v_add_co_u32 v53, s17, v53, v113
	v_add_co_ci_u32_e64 v69, null, 0, v69, s17
	s_or_b32 s27, s16, s27
	s_waitcnt vmcnt(0)
	global_store_dwordx4 v[70:71], v[80:83], off glc slc
	s_andn2_b32 exec_lo, exec_lo, s27
	s_cbranch_execnz .LBB2_1147
; %bb.1148:                             ;   in Loop: Header=BB2_1065 Depth=2
	s_or_b32 exec_lo, exec_lo, s27
.LBB2_1149:                             ;   in Loop: Header=BB2_1065 Depth=2
	s_or_b32 exec_lo, exec_lo, s26
	v_and_b32_e32 v70, 8, v9
	v_mov_b32_e32 v52, 0
	s_mov_b32 s17, 0
	s_mov_b32 s26, exec_lo
                                        ; implicit-def: $vgpr69
                                        ; implicit-def: $vgpr53
	v_cndmask_b32_e32 v9, v67, v70, vcc_lo
	v_cmpx_ne_u32_e32 0, v9
	s_cbranch_execz .LBB2_1151
; %bb.1150:                             ;   in Loop: Header=BB2_1065 Depth=2
	v_cmp_lt_i32_e64 s16, 0, v68
	v_sub_nc_u32_e32 v53, v67, v70
	s_mov_b32 s17, exec_lo
	v_cndmask_b32_e64 v52, 0, v97, s16
	v_cndmask_b32_e32 v53, 0, v53, vcc_lo
	v_sub_nc_u32_e32 v52, v52, v68
	v_lshl_add_u32 v69, v52, 5, v66
	v_ashrrev_i32_e32 v52, 31, v69
	v_lshrrev_b32_e32 v52, 27, v52
	v_add_nc_u32_e32 v52, v69, v52
	v_and_b32_e32 v66, 0xffffffe0, v52
	v_add3_u32 v52, v65, v64, v53
	v_sub_nc_u32_e32 v53, v69, v66
.LBB2_1151:                             ;   in Loop: Header=BB2_1065 Depth=2
	s_or_b32 exec_lo, exec_lo, s26
	s_and_b32 s16, s17, exec_lo
.LBB2_1152:                             ;   in Loop: Header=BB2_1065 Depth=2
	s_or_b32 exec_lo, exec_lo, s25
	s_and_saveexec_b32 s25, s16
	s_cbranch_execz .LBB2_1161
.LBB2_1153:                             ;   in Loop: Header=BB2_1065 Depth=2
	v_ashrrev_i32_e32 v64, 31, v69
	v_ashrrev_i32_e32 v65, 31, v9
	v_lshlrev_b32_e32 v67, 3, v53
	s_mov_b32 s26, exec_lo
	v_lshrrev_b32_e32 v64, 27, v64
	v_add_nc_u32_sdwa v65, v9, v65 dst_sel:DWORD dst_unused:UNUSED_PAD src0_sel:DWORD src1_sel:BYTE_3
	v_add_nc_u32_e32 v64, v69, v64
	v_ashrrev_i32_e32 v69, 8, v65
	v_ashrrev_i32_e32 v66, 5, v64
	v_and_b32_e32 v64, 0xffffff00, v65
	v_lshl_add_u32 v68, v66, 8, v67
	v_sub_nc_u32_e32 v65, v9, v64
	v_sub_nc_u32_e32 v66, v69, v66
	;; [unrolled: 1-line block ×3, first 2 shown]
	v_cmp_lt_i32_e32 vcc_lo, 7, v65
	v_add_co_ci_u32_e64 v66, null, 0, v66, vcc_lo
	v_cmpx_lt_i32_e32 7, v67
	s_cbranch_execz .LBB2_1157
; %bb.1154:                             ;   in Loop: Header=BB2_1065 Depth=2
	v_add_nc_u32_e32 v68, v68, v52
	s_mov_b32 s27, 0
	v_ashrrev_i32_e32 v69, 31, v68
	.p2align	6
.LBB2_1155:                             ;   Parent Loop BB2_47 Depth=1
                                        ;     Parent Loop BB2_1065 Depth=2
                                        ; =>    This Inner Loop Header: Depth=3
	v_add_co_u32 v70, s16, v48, v68
	v_add_co_ci_u32_e64 v71, null, v49, v69, s16
	v_sub_nc_u32_e32 v67, v67, v114
	v_add_co_u32 v80, s16, v50, v68
	flat_load_dwordx2 v[70:71], v[70:71] slc
	v_add_co_ci_u32_e64 v81, null, v51, v69, s16
	v_cmp_gt_i32_e64 s16, 8, v67
	v_add_co_u32 v68, s17, v68, v114
	v_sub_nc_u32_e32 v66, v66, v97
	v_add_co_ci_u32_e64 v69, null, 0, v69, s17
	s_or_b32 s27, s16, s27
	s_waitcnt vmcnt(0) lgkmcnt(0)
	flat_store_dwordx2 v[80:81], v[70:71] glc slc
	s_andn2_b32 exec_lo, exec_lo, s27
	s_cbranch_execnz .LBB2_1155
; %bb.1156:                             ;   in Loop: Header=BB2_1065 Depth=2
	s_or_b32 exec_lo, exec_lo, s27
.LBB2_1157:                             ;   in Loop: Header=BB2_1065 Depth=2
	s_or_b32 exec_lo, exec_lo, s26
	v_and_b32_e32 v67, 7, v9
	v_cndmask_b32_e32 v9, v65, v67, vcc_lo
	v_cmp_ne_u32_e64 s16, 0, v9
	s_and_b32 exec_lo, exec_lo, s16
	s_cbranch_execz .LBB2_1161
; %bb.1158:                             ;   in Loop: Header=BB2_1065 Depth=2
	v_cmp_lt_i32_e64 s16, 0, v66
	v_cndmask_b32_e64 v68, 0, v97, s16
	v_sub_nc_u32_e32 v66, v68, v66
	v_lshl_add_u32 v53, v66, 5, v53
	v_ashrrev_i32_e32 v66, 31, v53
	v_lshrrev_b32_e32 v66, 27, v66
	v_add_nc_u32_e32 v66, v53, v66
	v_and_b32_e32 v68, 0x1fffffe0, v66
	v_lshlrev_b32_e32 v66, 3, v66
	v_sub_nc_u32_e32 v53, v53, v68
	v_and_b32_e32 v66, 0xffffff00, v66
	v_lshl_add_u32 v53, v53, 3, v66
	v_sub_nc_u32_e32 v9, v9, v53
	v_cmp_lt_i32_e64 s16, 7, v9
	s_and_b32 exec_lo, exec_lo, s16
	s_cbranch_execz .LBB2_1161
; %bb.1159:                             ;   in Loop: Header=BB2_1065 Depth=2
	v_sub_nc_u32_e32 v65, v65, v67
	v_add_nc_u32_e32 v52, v64, v52
	s_mov_b32 s17, 0
	v_cndmask_b32_e32 v64, 0, v65, vcc_lo
	v_add3_u32 v52, v52, v64, v53
	v_ashrrev_i32_e32 v53, 31, v52
	.p2align	6
.LBB2_1160:                             ;   Parent Loop BB2_47 Depth=1
                                        ;     Parent Loop BB2_1065 Depth=2
                                        ; =>    This Inner Loop Header: Depth=3
	v_add_co_u32 v64, vcc_lo, v48, v52
	v_add_co_ci_u32_e64 v65, null, v49, v53, vcc_lo
	v_sub_nc_u32_e32 v9, v9, v115
	v_add_co_u32 v66, vcc_lo, v50, v52
	flat_load_dwordx2 v[64:65], v[64:65] slc
	v_add_co_ci_u32_e64 v67, null, v51, v53, vcc_lo
	v_cmp_gt_i32_e32 vcc_lo, 8, v9
	v_add_co_u32 v52, s16, v52, v114
	v_add_co_ci_u32_e64 v53, null, 0, v53, s16
	s_or_b32 s17, vcc_lo, s17
	s_waitcnt vmcnt(0) lgkmcnt(0)
	flat_store_dwordx2 v[66:67], v[64:65] glc slc
	s_andn2_b32 exec_lo, exec_lo, s17
	s_cbranch_execnz .LBB2_1160
.LBB2_1161:                             ;   in Loop: Header=BB2_1065 Depth=2
	s_or_b32 exec_lo, exec_lo, s25
	v_cmp_lt_i32_e64 s16, 0, v2
	s_and_saveexec_b32 s17, s6
	s_cbranch_execz .LBB2_1136
.LBB2_1162:                             ;   in Loop: Header=BB2_1065 Depth=2
	s_and_saveexec_b32 s25, s44
	s_xor_b32 s25, exec_lo, s25
	s_cbranch_execz .LBB2_1177
; %bb.1163:                             ;   in Loop: Header=BB2_1065 Depth=2
	s_and_saveexec_b32 s26, s11
	s_cbranch_execz .LBB2_1176
; %bb.1164:                             ;   in Loop: Header=BB2_1065 Depth=2
	s_mov_b32 s28, exec_lo
	s_mov_b32 s27, exec_lo
	v_mbcnt_lo_u32_b32 v2, s28, 0
	s_waitcnt vmcnt(0) lgkmcnt(0)
	s_waitcnt_vscnt null, 0x0
	buffer_gl1_inv
	buffer_gl0_inv
	v_cmpx_eq_u32_e32 0, v2
	s_cbranch_execz .LBB2_1166
; %bb.1165:                             ;   in Loop: Header=BB2_1065 Depth=2
	s_bcnt1_i32_b32 s28, s28
	v_mov_b32_e32 v2, s28
	ds_add_u64 v0, v[2:3]
	s_trap 2
.LBB2_1166:                             ;   in Loop: Header=BB2_1065 Depth=2
	s_or_b32 exec_lo, exec_lo, s27
	s_trap 2
	ds_read_b64 v[48:49], v0
	s_waitcnt lgkmcnt(0)
	buffer_gl0_inv
	v_add_co_u32 v12, vcc_lo, v12, v97
	v_add_co_ci_u32_e64 v13, null, 0, v13, vcc_lo
	s_mov_b32 s27, exec_lo
	v_cmpx_lt_u64_e64 v[48:49], v[12:13]
	s_cbranch_execz .LBB2_1175
; %bb.1167:                             ;   in Loop: Header=BB2_1065 Depth=2
	s_mov_b32 s28, 0
	s_mov_b32 s76, 0
                                        ; implicit-def: $sgpr29
                                        ; implicit-def: $sgpr75
	s_inst_prefetch 0x1
	s_branch .LBB2_1169
	.p2align	6
.LBB2_1168:                             ;   in Loop: Header=BB2_1169 Depth=3
	s_or_b32 exec_lo, exec_lo, s78
	s_and_b32 s77, exec_lo, s79
	s_or_b32 s28, s77, s28
	s_andn2_b32 s29, s29, exec_lo
	s_and_b32 s77, s75, exec_lo
	s_or_b32 s29, s29, s77
	s_andn2_b32 exec_lo, exec_lo, s28
	s_cbranch_execz .LBB2_1173
.LBB2_1169:                             ;   Parent Loop BB2_47 Depth=1
                                        ;     Parent Loop BB2_1065 Depth=2
                                        ; =>    This Inner Loop Header: Depth=3
	s_add_i32 s76, s76, 1
	s_cmpk_lg_i32 s76, 0x2710
	s_cselect_b32 s77, -1, 0
	s_and_b32 vcc_lo, exec_lo, s77
	s_cbranch_vccz .LBB2_1171
; %bb.1170:                             ;   in Loop: Header=BB2_1169 Depth=3
	s_mov_b32 s79, -1
	s_or_b32 s75, s75, exec_lo
	s_and_saveexec_b32 s78, s77
	s_cbranch_execz .LBB2_1168
	s_branch .LBB2_1172
	.p2align	6
.LBB2_1171:                             ;   in Loop: Header=BB2_1169 Depth=3
	s_trap 2
	ds_read_b64 v[48:49], v0
	s_andn2_b32 s77, s77, exec_lo
	s_mov_b32 s76, 0
	s_waitcnt lgkmcnt(0)
	flat_load_dword v2, v[48:49] glc dlc
	s_waitcnt vmcnt(0) lgkmcnt(0)
	buffer_gl1_inv
	buffer_gl0_inv
	v_cmp_eq_u32_e32 vcc_lo, 0, v2
	s_and_b32 s78, vcc_lo, exec_lo
	s_or_b32 s77, s77, s78
	s_mov_b32 s79, -1
	s_or_b32 s75, s75, exec_lo
	s_and_saveexec_b32 s78, s77
	s_cbranch_execz .LBB2_1168
.LBB2_1172:                             ;   in Loop: Header=BB2_1169 Depth=3
	s_sleep 1
	s_trap 2
	ds_read_b64 v[48:49], v0
	s_waitcnt lgkmcnt(0)
	buffer_gl0_inv
	s_andn2_b32 s75, s75, exec_lo
	v_cmp_ge_u64_e32 vcc_lo, v[48:49], v[12:13]
	s_orn2_b32 s79, vcc_lo, exec_lo
	s_branch .LBB2_1168
.LBB2_1173:                             ;   in Loop: Header=BB2_1065 Depth=2
	s_inst_prefetch 0x2
	s_or_b32 exec_lo, exec_lo, s28
	s_and_saveexec_b32 s28, s29
	s_xor_b32 s28, exec_lo, s28
	s_cbranch_execz .LBB2_1175
; %bb.1174:                             ;   in Loop: Header=BB2_1065 Depth=2
	ds_write_b32 v0, v101
	s_trap 2
.LBB2_1175:                             ;   in Loop: Header=BB2_1065 Depth=2
	s_or_b32 exec_lo, exec_lo, s27
	;;#ASMSTART
	s_wakeup
	;;#ASMEND
.LBB2_1176:                             ;   in Loop: Header=BB2_1065 Depth=2
	s_or_b32 exec_lo, exec_lo, s26
.LBB2_1177:                             ;   in Loop: Header=BB2_1065 Depth=2
	s_andn2_saveexec_b32 s25, s25
	s_cbranch_execz .LBB2_1179
; %bb.1178:                             ;   in Loop: Header=BB2_1065 Depth=2
	s_waitcnt vmcnt(0) lgkmcnt(0)
	s_waitcnt_vscnt null, 0x0
	buffer_gl1_inv
	buffer_gl0_inv
	s_barrier
.LBB2_1179:                             ;   in Loop: Header=BB2_1065 Depth=2
	s_or_b32 exec_lo, exec_lo, s25
	s_or_b32 exec_lo, exec_lo, s17
	s_and_saveexec_b32 s17, s15
	s_xor_b32 s17, exec_lo, s17
	s_cbranch_execnz .LBB2_1137
.LBB2_1180:                             ;   in Loop: Header=BB2_1065 Depth=2
	s_andn2_saveexec_b32 s16, s17
	s_cbranch_execz .LBB2_1199
.LBB2_1181:                             ;   in Loop: Header=BB2_1065 Depth=2
	s_and_saveexec_b32 s17, s44
	s_xor_b32 s17, exec_lo, s17
	s_cbranch_execz .LBB2_1196
; %bb.1182:                             ;   in Loop: Header=BB2_1065 Depth=2
	s_and_saveexec_b32 s25, s11
	s_cbranch_execz .LBB2_1195
; %bb.1183:                             ;   in Loop: Header=BB2_1065 Depth=2
	s_mov_b32 s27, exec_lo
	s_mov_b32 s26, exec_lo
	v_mbcnt_lo_u32_b32 v2, s27, 0
	;;#ASMSTART
	s_waitcnt lgkmcnt(0) vmcnt(0)
	;;#ASMEND
	v_cmpx_eq_u32_e32 0, v2
	s_cbranch_execz .LBB2_1185
; %bb.1184:                             ;   in Loop: Header=BB2_1065 Depth=2
	s_bcnt1_i32_b32 s27, s27
	v_mov_b32_e32 v2, s27
	s_waitcnt vmcnt(0) lgkmcnt(0)
	s_waitcnt_vscnt null, 0x0
	ds_add_u64 v0, v[2:3]
	s_trap 2
.LBB2_1185:                             ;   in Loop: Header=BB2_1065 Depth=2
	s_or_b32 exec_lo, exec_lo, s26
	s_trap 2
	ds_read_b64 v[48:49], v0
	s_waitcnt vmcnt(0) lgkmcnt(0)
	buffer_gl0_inv
	v_add_co_u32 v12, vcc_lo, v12, v97
	v_add_co_ci_u32_e64 v13, null, 0, v13, vcc_lo
	s_mov_b32 s26, exec_lo
	v_cmpx_lt_u64_e64 v[48:49], v[12:13]
	s_cbranch_execz .LBB2_1194
; %bb.1186:                             ;   in Loop: Header=BB2_1065 Depth=2
	s_mov_b32 s27, 0
	s_mov_b32 s75, 0
                                        ; implicit-def: $sgpr28
                                        ; implicit-def: $sgpr29
	s_inst_prefetch 0x1
	s_branch .LBB2_1188
	.p2align	6
.LBB2_1187:                             ;   in Loop: Header=BB2_1188 Depth=3
	s_or_b32 exec_lo, exec_lo, s77
	s_and_b32 s76, exec_lo, s78
	s_or_b32 s27, s76, s27
	s_andn2_b32 s28, s28, exec_lo
	s_and_b32 s76, s29, exec_lo
	s_or_b32 s28, s28, s76
	s_andn2_b32 exec_lo, exec_lo, s27
	s_cbranch_execz .LBB2_1192
.LBB2_1188:                             ;   Parent Loop BB2_47 Depth=1
                                        ;     Parent Loop BB2_1065 Depth=2
                                        ; =>    This Inner Loop Header: Depth=3
	s_add_i32 s75, s75, 1
	s_cmpk_lg_i32 s75, 0x2710
	s_cselect_b32 s76, -1, 0
	s_and_b32 vcc_lo, exec_lo, s76
	s_cbranch_vccz .LBB2_1190
; %bb.1189:                             ;   in Loop: Header=BB2_1188 Depth=3
	s_mov_b32 s78, -1
	s_or_b32 s29, s29, exec_lo
	s_and_saveexec_b32 s77, s76
	s_cbranch_execz .LBB2_1187
	s_branch .LBB2_1191
	.p2align	6
.LBB2_1190:                             ;   in Loop: Header=BB2_1188 Depth=3
	s_trap 2
	ds_read_b64 v[48:49], v0
	s_andn2_b32 s76, s76, exec_lo
	s_mov_b32 s75, 0
	s_waitcnt lgkmcnt(0)
	s_waitcnt_vscnt null, 0x0
	flat_load_dword v2, v[48:49] glc dlc
	s_waitcnt vmcnt(0) lgkmcnt(0)
	buffer_gl1_inv
	buffer_gl0_inv
	v_cmp_eq_u32_e32 vcc_lo, 0, v2
	s_and_b32 s77, vcc_lo, exec_lo
	s_or_b32 s76, s76, s77
	s_mov_b32 s78, -1
	s_or_b32 s29, s29, exec_lo
	s_and_saveexec_b32 s77, s76
	s_cbranch_execz .LBB2_1187
.LBB2_1191:                             ;   in Loop: Header=BB2_1188 Depth=3
	s_sleep 1
	s_trap 2
	ds_read_b64 v[48:49], v0
	s_waitcnt lgkmcnt(0)
	buffer_gl0_inv
	s_andn2_b32 s29, s29, exec_lo
	v_cmp_ge_u64_e32 vcc_lo, v[48:49], v[12:13]
	s_orn2_b32 s78, vcc_lo, exec_lo
	s_branch .LBB2_1187
.LBB2_1192:                             ;   in Loop: Header=BB2_1065 Depth=2
	s_inst_prefetch 0x2
	s_or_b32 exec_lo, exec_lo, s27
	s_and_saveexec_b32 s27, s28
	s_xor_b32 s27, exec_lo, s27
	s_cbranch_execz .LBB2_1194
; %bb.1193:                             ;   in Loop: Header=BB2_1065 Depth=2
	ds_write_b32 v0, v101
	s_trap 2
.LBB2_1194:                             ;   in Loop: Header=BB2_1065 Depth=2
	s_or_b32 exec_lo, exec_lo, s26
	;;#ASMSTART
	s_wakeup
	;;#ASMEND
.LBB2_1195:                             ;   in Loop: Header=BB2_1065 Depth=2
	s_or_b32 exec_lo, exec_lo, s25
.LBB2_1196:                             ;   in Loop: Header=BB2_1065 Depth=2
	s_andn2_saveexec_b32 s17, s17
	s_cbranch_execz .LBB2_1198
; %bb.1197:                             ;   in Loop: Header=BB2_1065 Depth=2
	;;#ASMSTART
	s_waitcnt lgkmcnt(0) vmcnt(0)
	;;#ASMEND
	s_barrier
.LBB2_1198:                             ;   in Loop: Header=BB2_1065 Depth=2
	s_or_b32 exec_lo, exec_lo, s17
.LBB2_1199:                             ;   in Loop: Header=BB2_1065 Depth=2
	s_or_b32 exec_lo, exec_lo, s16
	v_and_b32_e32 v2, 32, v87
	s_mov_b32 s16, exec_lo
	v_cmpx_ne_u32_e32 0, v2
	s_cbranch_execz .LBB2_1064
; %bb.1200:                             ;   in Loop: Header=BB2_1065 Depth=2
	v_add_co_u32 v38, vcc_lo, v38, 2
	v_add_co_ci_u32_e64 v39, null, 0, v39, vcc_lo
	s_waitcnt vmcnt(0) lgkmcnt(0)
	s_waitcnt_vscnt null, 0x0
	flat_store_dwordx2 v[20:21], v[38:39]
	s_branch .LBB2_1064
.LBB2_1201:                             ;   in Loop: Header=BB2_47 Depth=1
	s_or_b32 exec_lo, exec_lo, s19
.LBB2_1202:                             ;   in Loop: Header=BB2_47 Depth=1
	s_or_b32 exec_lo, exec_lo, s18
	s_mov_b32 s17, exec_lo
	v_cmpx_gt_i32_e32 2, v2
	s_cbranch_execz .LBB2_46
; %bb.1203:                             ;   in Loop: Header=BB2_47 Depth=1
	v_cmp_eq_u32_e64 s19, 0, v2
	s_mov_b32 s18, 0
	s_branch .LBB2_1205
.LBB2_1204:                             ;   in Loop: Header=BB2_1205 Depth=2
	s_or_b32 exec_lo, exec_lo, s16
	v_add_nc_u32_e32 v8, v55, v8
	s_mov_b32 s19, 0
	s_andn2_b32 exec_lo, exec_lo, s18
	s_cbranch_execz .LBB2_45
.LBB2_1205:                             ;   Parent Loop BB2_47 Depth=1
                                        ; =>  This Loop Header: Depth=2
                                        ;       Child Loop BB2_1211 Depth 3
                                        ;       Child Loop BB2_1235 Depth 3
	;; [unrolled: 1-line block ×3, first 2 shown]
	v_and_b32_e32 v2, 4, v87
	s_mov_b32 s20, exec_lo
	v_cmpx_ne_u32_e32 0, v2
	s_cbranch_execz .LBB2_1227
; %bb.1206:                             ;   in Loop: Header=BB2_1205 Depth=2
	v_add_co_u32 v9, vcc_lo, v38, 2
	v_add_co_ci_u32_e64 v10, null, 0, v39, vcc_lo
	s_mov_b32 s22, exec_lo
	s_waitcnt vmcnt(0) lgkmcnt(1)
	v_cmpx_lt_u64_e64 v[26:27], v[9:10]
	s_cbranch_execz .LBB2_1218
; %bb.1207:                             ;   in Loop: Header=BB2_1205 Depth=2
	v_and_b32_e32 v2, 64, v87
	s_mov_b32 s25, 0
	s_mov_b32 s29, 0
                                        ; implicit-def: $sgpr26
                                        ; implicit-def: $sgpr27
                                        ; implicit-def: $sgpr28
	v_cmp_eq_u32_e32 vcc_lo, 0, v2
	s_branch .LBB2_1211
.LBB2_1208:                             ;   in Loop: Header=BB2_1211 Depth=3
	s_waitcnt vmcnt(0) lgkmcnt(0)
	v_cmp_ge_u64_e64 s16, v[26:27], v[9:10]
	s_or_b32 s77, s77, exec_lo
	s_orn2_b32 s76, s16, exec_lo
.LBB2_1209:                             ;   in Loop: Header=BB2_1211 Depth=3
	s_or_b32 exec_lo, exec_lo, s79
	s_andn2_b32 s16, s28, exec_lo
	s_and_b32 s28, s77, exec_lo
	s_andn2_b32 s27, s27, exec_lo
	s_and_b32 s76, s76, exec_lo
	s_or_b32 s28, s16, s28
	s_or_b32 s27, s27, s76
.LBB2_1210:                             ;   in Loop: Header=BB2_1211 Depth=3
	s_or_b32 exec_lo, exec_lo, s75
	s_and_b32 s16, exec_lo, s27
	s_or_b32 s25, s16, s25
	s_andn2_b32 s16, s26, exec_lo
	s_and_b32 s26, s28, exec_lo
	s_or_b32 s26, s16, s26
	s_andn2_b32 exec_lo, exec_lo, s25
	s_cbranch_execz .LBB2_1215
.LBB2_1211:                             ;   Parent Loop BB2_47 Depth=1
                                        ;     Parent Loop BB2_1205 Depth=2
                                        ; =>    This Inner Loop Header: Depth=3
	s_sleep 1
	s_waitcnt vmcnt(0) lgkmcnt(0)
	flat_load_dwordx2 v[26:27], v[20:21] glc dlc
	s_or_b32 s28, s28, exec_lo
	s_or_b32 s27, s27, exec_lo
                                        ; implicit-def: $vgpr2
	s_and_saveexec_b32 s75, vcc_lo
	s_cbranch_execz .LBB2_1210
; %bb.1212:                             ;   in Loop: Header=BB2_1211 Depth=3
	s_cmpk_lt_i32 s29, 0x270f
	s_mov_b32 s76, -1
	s_cselect_b32 s78, -1, 0
	s_cmpk_gt_i32 s29, 0x270e
	s_cbranch_scc0 .LBB2_1214
; %bb.1213:                             ;   in Loop: Header=BB2_1211 Depth=3
	s_trap 2
	ds_read_b64 v[48:49], v0
	s_andn2_b32 s29, s78, exec_lo
	s_mov_b32 s77, 0
	s_waitcnt vmcnt(0) lgkmcnt(0)
	s_waitcnt_vscnt null, 0x0
	flat_load_dword v2, v[48:49] glc dlc
	s_waitcnt vmcnt(0) lgkmcnt(0)
	buffer_gl1_inv
	buffer_gl0_inv
	v_cmp_eq_u32_e64 s16, 0, v2
	s_and_b32 s16, s16, exec_lo
	s_or_b32 s78, s29, s16
	s_mov_b32 s29, 0
	s_and_saveexec_b32 s79, s78
	s_cbranch_execz .LBB2_1209
	s_branch .LBB2_1208
.LBB2_1214:                             ;   in Loop: Header=BB2_1211 Depth=3
	s_add_i32 s29, s29, 1
	s_mov_b32 s77, -1
                                        ; implicit-def: $vgpr2
	s_and_saveexec_b32 s79, s78
	s_cbranch_execz .LBB2_1209
	s_branch .LBB2_1208
.LBB2_1215:                             ;   in Loop: Header=BB2_1205 Depth=2
	s_or_b32 exec_lo, exec_lo, s25
	s_xor_b32 s16, s26, -1
	s_and_saveexec_b32 s25, s16
	s_xor_b32 s16, exec_lo, s25
	s_cbranch_execz .LBB2_1217
; %bb.1216:                             ;   in Loop: Header=BB2_1205 Depth=2
	v_or_b32_e32 v87, 64, v87
	s_waitcnt vmcnt(0) lgkmcnt(0)
	s_waitcnt_vscnt null, 0x0
	ds_write_b32 v0, v2
	s_trap 2
.LBB2_1217:                             ;   in Loop: Header=BB2_1205 Depth=2
	s_or_b32 exec_lo, exec_lo, s16
.LBB2_1218:                             ;   in Loop: Header=BB2_1205 Depth=2
	s_or_b32 exec_lo, exec_lo, s22
	v_and_b32_e32 v2, 0x100, v87
	s_mov_b32 s16, -1
	;;#ASMSTART
	s_wakeup
	;;#ASMEND
	v_cmp_ne_u32_e32 vcc_lo, 0, v2
	v_and_b32_e32 v2, 7, v38
                                        ; implicit-def: $vgpr38_vgpr39
	s_and_saveexec_b32 s22, vcc_lo
	s_cbranch_execz .LBB2_1222
; %bb.1219:                             ;   in Loop: Header=BB2_1205 Depth=2
	v_mad_u64_u32 v[48:49], null, v2, 24, v[6:7]
	s_mov_b32 s25, exec_lo
                                        ; implicit-def: $vgpr38_vgpr39
	flat_load_dword v11, v[48:49]
	s_waitcnt vmcnt(0) lgkmcnt(0)
	v_cmp_ne_u32_e32 vcc_lo, 1, v11
	v_cmpx_eq_u32_e32 1, v11
	s_cbranch_execz .LBB2_1221
; %bb.1220:                             ;   in Loop: Header=BB2_1205 Depth=2
	flat_load_dword v38, v[48:49] offset:4 glc dlc
	s_waitcnt vmcnt(0) lgkmcnt(0)
	v_ashrrev_i32_e32 v39, 31, v38
	v_lshrrev_b64 v[38:39], 3, v[38:39]
.LBB2_1221:                             ;   in Loop: Header=BB2_1205 Depth=2
	s_or_b32 exec_lo, exec_lo, s25
	s_orn2_b32 s16, vcc_lo, exec_lo
.LBB2_1222:                             ;   in Loop: Header=BB2_1205 Depth=2
	s_or_b32 exec_lo, exec_lo, s22
	s_and_saveexec_b32 s22, s16
; %bb.1223:                             ;   in Loop: Header=BB2_1205 Depth=2
	v_mad_i64_i32 v[38:39], null, v2, v96, 0
; %bb.1224:                             ;   in Loop: Header=BB2_1205 Depth=2
	s_or_b32 exec_lo, exec_lo, s22
	v_lshlrev_b64 v[38:39], 3, v[38:39]
	v_and_b32_e32 v2, 0x2000, v87
	s_mov_b32 s16, exec_lo
	v_add_co_u32 v38, vcc_lo, v22, v38
	v_add_co_ci_u32_e64 v39, null, v23, v39, vcc_lo
	ds_write_b64 v0, v[38:39] offset:720
	v_cmpx_ne_u32_e32 0, v2
	s_cbranch_execz .LBB2_1226
; %bb.1225:                             ;   in Loop: Header=BB2_1205 Depth=2
	ds_read_b64 v[38:39], v0 offset:872
	s_waitcnt lgkmcnt(0)
	v_add_co_u32 v38, vcc_lo, v38, 1
	v_add_co_ci_u32_e64 v39, null, 0, v39, vcc_lo
	ds_write_b64 v0, v[38:39] offset:872
.LBB2_1226:                             ;   in Loop: Header=BB2_1205 Depth=2
	s_or_b32 exec_lo, exec_lo, s16
	v_mov_b32_e32 v39, v10
	v_mov_b32_e32 v38, v9
.LBB2_1227:                             ;   in Loop: Header=BB2_1205 Depth=2
	s_or_b32 exec_lo, exec_lo, s20
	s_xor_b32 s16, s19, -1
	s_and_b32 s16, exec_lo, s16
	s_or_b32 s18, s16, s18
	s_and_saveexec_b32 s16, s6
	s_cbranch_execz .LBB2_1246
; %bb.1228:                             ;   in Loop: Header=BB2_1205 Depth=2
	s_and_saveexec_b32 s19, s44
	s_xor_b32 s19, exec_lo, s19
	s_cbranch_execz .LBB2_1243
; %bb.1229:                             ;   in Loop: Header=BB2_1205 Depth=2
	s_and_saveexec_b32 s20, s11
	s_cbranch_execz .LBB2_1242
; %bb.1230:                             ;   in Loop: Header=BB2_1205 Depth=2
	s_mov_b32 s25, exec_lo
	s_mov_b32 s22, exec_lo
	v_mbcnt_lo_u32_b32 v2, s25, 0
	s_waitcnt vmcnt(0) lgkmcnt(0)
	s_waitcnt_vscnt null, 0x0
	buffer_gl1_inv
	buffer_gl0_inv
	v_cmpx_eq_u32_e32 0, v2
	s_cbranch_execz .LBB2_1232
; %bb.1231:                             ;   in Loop: Header=BB2_1205 Depth=2
	s_bcnt1_i32_b32 s25, s25
	v_mov_b32_e32 v2, s25
	ds_add_u64 v0, v[2:3]
	s_trap 2
.LBB2_1232:                             ;   in Loop: Header=BB2_1205 Depth=2
	s_or_b32 exec_lo, exec_lo, s22
	s_trap 2
	ds_read_b64 v[9:10], v0
	s_waitcnt lgkmcnt(0)
	buffer_gl0_inv
	v_add_co_u32 v12, vcc_lo, v12, v97
	v_add_co_ci_u32_e64 v13, null, 0, v13, vcc_lo
	s_mov_b32 s22, exec_lo
	v_cmpx_lt_u64_e64 v[9:10], v[12:13]
	s_cbranch_execz .LBB2_1241
; %bb.1233:                             ;   in Loop: Header=BB2_1205 Depth=2
	s_mov_b32 s25, 0
	s_mov_b32 s28, 0
                                        ; implicit-def: $sgpr26
                                        ; implicit-def: $sgpr27
	s_inst_prefetch 0x1
	s_branch .LBB2_1235
	.p2align	6
.LBB2_1234:                             ;   in Loop: Header=BB2_1235 Depth=3
	s_or_b32 exec_lo, exec_lo, s75
	s_and_b32 s29, exec_lo, s76
	s_or_b32 s25, s29, s25
	s_andn2_b32 s26, s26, exec_lo
	s_and_b32 s29, s27, exec_lo
	s_or_b32 s26, s26, s29
	s_andn2_b32 exec_lo, exec_lo, s25
	s_cbranch_execz .LBB2_1239
.LBB2_1235:                             ;   Parent Loop BB2_47 Depth=1
                                        ;     Parent Loop BB2_1205 Depth=2
                                        ; =>    This Inner Loop Header: Depth=3
	s_add_i32 s28, s28, 1
	s_cmpk_lg_i32 s28, 0x2710
	s_cselect_b32 s29, -1, 0
	s_and_b32 vcc_lo, exec_lo, s29
	s_cbranch_vccz .LBB2_1237
; %bb.1236:                             ;   in Loop: Header=BB2_1235 Depth=3
	s_mov_b32 s76, -1
	s_or_b32 s27, s27, exec_lo
	s_and_saveexec_b32 s75, s29
	s_cbranch_execz .LBB2_1234
	s_branch .LBB2_1238
	.p2align	6
.LBB2_1237:                             ;   in Loop: Header=BB2_1235 Depth=3
	s_trap 2
	ds_read_b64 v[9:10], v0
	s_andn2_b32 s29, s29, exec_lo
	s_mov_b32 s28, 0
	s_waitcnt lgkmcnt(0)
	flat_load_dword v2, v[9:10] glc dlc
	s_waitcnt vmcnt(0) lgkmcnt(0)
	buffer_gl1_inv
	buffer_gl0_inv
	v_cmp_eq_u32_e32 vcc_lo, 0, v2
	s_and_b32 s75, vcc_lo, exec_lo
	s_or_b32 s29, s29, s75
	s_mov_b32 s76, -1
	s_or_b32 s27, s27, exec_lo
	s_and_saveexec_b32 s75, s29
	s_cbranch_execz .LBB2_1234
.LBB2_1238:                             ;   in Loop: Header=BB2_1235 Depth=3
	s_sleep 1
	s_trap 2
	ds_read_b64 v[9:10], v0
	s_waitcnt lgkmcnt(0)
	buffer_gl0_inv
	s_andn2_b32 s27, s27, exec_lo
	v_cmp_ge_u64_e32 vcc_lo, v[9:10], v[12:13]
	s_orn2_b32 s76, vcc_lo, exec_lo
	s_branch .LBB2_1234
.LBB2_1239:                             ;   in Loop: Header=BB2_1205 Depth=2
	s_inst_prefetch 0x2
	s_or_b32 exec_lo, exec_lo, s25
	s_and_saveexec_b32 s25, s26
	s_xor_b32 s25, exec_lo, s25
	s_cbranch_execz .LBB2_1241
; %bb.1240:                             ;   in Loop: Header=BB2_1205 Depth=2
	ds_write_b32 v0, v101
	s_trap 2
.LBB2_1241:                             ;   in Loop: Header=BB2_1205 Depth=2
	s_or_b32 exec_lo, exec_lo, s22
	;;#ASMSTART
	s_wakeup
	;;#ASMEND
.LBB2_1242:                             ;   in Loop: Header=BB2_1205 Depth=2
	s_or_b32 exec_lo, exec_lo, s20
.LBB2_1243:                             ;   in Loop: Header=BB2_1205 Depth=2
	s_andn2_saveexec_b32 s19, s19
	s_cbranch_execz .LBB2_1245
; %bb.1244:                             ;   in Loop: Header=BB2_1205 Depth=2
	s_waitcnt vmcnt(0) lgkmcnt(0)
	s_waitcnt_vscnt null, 0x0
	buffer_gl1_inv
	buffer_gl0_inv
	s_barrier
.LBB2_1245:                             ;   in Loop: Header=BB2_1205 Depth=2
	s_or_b32 exec_lo, exec_lo, s19
.LBB2_1246:                             ;   in Loop: Header=BB2_1205 Depth=2
	s_or_b32 exec_lo, exec_lo, s16
	v_sub_nc_u32_e32 v2, v54, v8
	v_min_i32_e32 v55, v55, v2
	s_and_saveexec_b32 s16, s15
	s_xor_b32 s19, exec_lo, s16
	s_cbranch_execz .LBB2_1250
; %bb.1247:                             ;   in Loop: Header=BB2_1205 Depth=2
	s_trap 2
	ds_read_b32 v2, v0
	v_cmp_lt_i32_e32 vcc_lo, 0, v55
	s_waitcnt lgkmcnt(0)
	v_readfirstlane_b32 s16, v2
	v_and_b32_e32 v2, 16, v87
	s_cmp_eq_u32 s16, 0
	v_cmp_ne_u32_e64 s16, 0, v2
	s_cselect_b32 s20, -1, 0
	s_and_b32 s20, vcc_lo, s20
	s_and_b32 s20, s16, s20
	s_and_saveexec_b32 s16, s20
	s_cbranch_execz .LBB2_1249
; %bb.1248:                             ;   in Loop: Header=BB2_1205 Depth=2
	s_waitcnt vmcnt(0)
	s_waitcnt_vscnt null, 0x0
	buffer_gl1_inv
	buffer_gl0_inv
.LBB2_1249:                             ;   in Loop: Header=BB2_1205 Depth=2
	s_or_b32 exec_lo, exec_lo, s16
.LBB2_1250:                             ;   in Loop: Header=BB2_1205 Depth=2
	s_andn2_saveexec_b32 s16, s19
	s_cbranch_execz .LBB2_1269
; %bb.1251:                             ;   in Loop: Header=BB2_1205 Depth=2
	s_and_saveexec_b32 s19, s44
	s_xor_b32 s19, exec_lo, s19
	s_cbranch_execz .LBB2_1266
; %bb.1252:                             ;   in Loop: Header=BB2_1205 Depth=2
	s_and_saveexec_b32 s20, s11
	s_cbranch_execz .LBB2_1265
; %bb.1253:                             ;   in Loop: Header=BB2_1205 Depth=2
	s_mov_b32 s25, exec_lo
	s_mov_b32 s22, exec_lo
	v_mbcnt_lo_u32_b32 v2, s25, 0
	;;#ASMSTART
	s_waitcnt lgkmcnt(0) vmcnt(0)
	;;#ASMEND
	v_cmpx_eq_u32_e32 0, v2
	s_cbranch_execz .LBB2_1255
; %bb.1254:                             ;   in Loop: Header=BB2_1205 Depth=2
	s_bcnt1_i32_b32 s25, s25
	v_mov_b32_e32 v2, s25
	s_waitcnt vmcnt(0) lgkmcnt(0)
	s_waitcnt_vscnt null, 0x0
	ds_add_u64 v0, v[2:3]
	s_trap 2
.LBB2_1255:                             ;   in Loop: Header=BB2_1205 Depth=2
	s_or_b32 exec_lo, exec_lo, s22
	s_trap 2
	ds_read_b64 v[9:10], v0
	s_waitcnt vmcnt(0) lgkmcnt(0)
	buffer_gl0_inv
	v_add_co_u32 v12, vcc_lo, v12, v97
	v_add_co_ci_u32_e64 v13, null, 0, v13, vcc_lo
	s_mov_b32 s22, exec_lo
	v_cmpx_lt_u64_e64 v[9:10], v[12:13]
	s_cbranch_execz .LBB2_1264
; %bb.1256:                             ;   in Loop: Header=BB2_1205 Depth=2
	s_mov_b32 s25, 0
	s_mov_b32 s28, 0
                                        ; implicit-def: $sgpr26
                                        ; implicit-def: $sgpr27
	s_inst_prefetch 0x1
	s_branch .LBB2_1258
	.p2align	6
.LBB2_1257:                             ;   in Loop: Header=BB2_1258 Depth=3
	s_or_b32 exec_lo, exec_lo, s75
	s_and_b32 s29, exec_lo, s76
	s_or_b32 s25, s29, s25
	s_andn2_b32 s26, s26, exec_lo
	s_and_b32 s29, s27, exec_lo
	s_or_b32 s26, s26, s29
	s_andn2_b32 exec_lo, exec_lo, s25
	s_cbranch_execz .LBB2_1262
.LBB2_1258:                             ;   Parent Loop BB2_47 Depth=1
                                        ;     Parent Loop BB2_1205 Depth=2
                                        ; =>    This Inner Loop Header: Depth=3
	s_add_i32 s28, s28, 1
	s_cmpk_lg_i32 s28, 0x2710
	s_cselect_b32 s29, -1, 0
	s_and_b32 vcc_lo, exec_lo, s29
	s_cbranch_vccz .LBB2_1260
; %bb.1259:                             ;   in Loop: Header=BB2_1258 Depth=3
	s_mov_b32 s76, -1
	s_or_b32 s27, s27, exec_lo
	s_and_saveexec_b32 s75, s29
	s_cbranch_execz .LBB2_1257
	s_branch .LBB2_1261
	.p2align	6
.LBB2_1260:                             ;   in Loop: Header=BB2_1258 Depth=3
	s_trap 2
	ds_read_b64 v[9:10], v0
	s_andn2_b32 s29, s29, exec_lo
	s_mov_b32 s28, 0
	s_waitcnt lgkmcnt(0)
	s_waitcnt_vscnt null, 0x0
	flat_load_dword v2, v[9:10] glc dlc
	s_waitcnt vmcnt(0) lgkmcnt(0)
	buffer_gl1_inv
	buffer_gl0_inv
	v_cmp_eq_u32_e32 vcc_lo, 0, v2
	s_and_b32 s75, vcc_lo, exec_lo
	s_or_b32 s29, s29, s75
	s_mov_b32 s76, -1
	s_or_b32 s27, s27, exec_lo
	s_and_saveexec_b32 s75, s29
	s_cbranch_execz .LBB2_1257
.LBB2_1261:                             ;   in Loop: Header=BB2_1258 Depth=3
	s_sleep 1
	s_trap 2
	ds_read_b64 v[9:10], v0
	s_waitcnt lgkmcnt(0)
	buffer_gl0_inv
	s_andn2_b32 s27, s27, exec_lo
	v_cmp_ge_u64_e32 vcc_lo, v[9:10], v[12:13]
	s_orn2_b32 s76, vcc_lo, exec_lo
	s_branch .LBB2_1257
.LBB2_1262:                             ;   in Loop: Header=BB2_1205 Depth=2
	s_inst_prefetch 0x2
	s_or_b32 exec_lo, exec_lo, s25
	s_and_saveexec_b32 s25, s26
	s_xor_b32 s25, exec_lo, s25
	s_cbranch_execz .LBB2_1264
; %bb.1263:                             ;   in Loop: Header=BB2_1205 Depth=2
	ds_write_b32 v0, v101
	s_trap 2
.LBB2_1264:                             ;   in Loop: Header=BB2_1205 Depth=2
	s_or_b32 exec_lo, exec_lo, s22
	;;#ASMSTART
	s_wakeup
	;;#ASMEND
.LBB2_1265:                             ;   in Loop: Header=BB2_1205 Depth=2
	s_or_b32 exec_lo, exec_lo, s20
.LBB2_1266:                             ;   in Loop: Header=BB2_1205 Depth=2
	s_andn2_saveexec_b32 s19, s19
	s_cbranch_execz .LBB2_1268
; %bb.1267:                             ;   in Loop: Header=BB2_1205 Depth=2
	;;#ASMSTART
	s_waitcnt lgkmcnt(0) vmcnt(0)
	;;#ASMEND
	s_barrier
.LBB2_1268:                             ;   in Loop: Header=BB2_1205 Depth=2
	s_or_b32 exec_lo, exec_lo, s19
.LBB2_1269:                             ;   in Loop: Header=BB2_1205 Depth=2
	s_or_b32 exec_lo, exec_lo, s16
	v_and_b32_e32 v2, 32, v87
	s_mov_b32 s16, exec_lo
	v_cmpx_ne_u32_e32 0, v2
	s_cbranch_execz .LBB2_1204
; %bb.1270:                             ;   in Loop: Header=BB2_1205 Depth=2
	v_add_co_u32 v38, vcc_lo, v38, 2
	v_add_co_ci_u32_e64 v39, null, 0, v39, vcc_lo
	s_waitcnt vmcnt(0) lgkmcnt(0)
	s_waitcnt_vscnt null, 0x0
	flat_store_dwordx2 v[20:21], v[38:39]
	s_branch .LBB2_1204
.LBB2_1271:
	s_or_b32 exec_lo, exec_lo, s73
.LBB2_1272:
	s_or_b32 exec_lo, exec_lo, s42
	v_and_b32_e32 v0, 0x800, v87
	s_mov_b32 s5, exec_lo
	v_cmpx_eq_u32_e32 0, v0
	s_cbranch_execz .LBB2_1305
; %bb.1273:
	v_and_b32_e32 v0, 48, v87
	s_mov_b32 s4, exec_lo
	v_cmpx_ne_u32_e32 0, v0
	s_cbranch_execz .LBB2_1275
; %bb.1274:
	flat_store_dwordx2 v[18:19], v[38:39] offset:104
.LBB2_1275:
	s_or_b32 exec_lo, exec_lo, s4
	v_and_b32_e32 v0, 0x88, v87
	s_mov_b32 s6, exec_lo
	v_cmpx_eq_u32_e32 0x88, v0
	s_cbranch_execz .LBB2_1285
; %bb.1276:
	v_add_nc_u32_e32 v0, 6, v38
	s_mov_b32 s7, 0
	v_and_b32_e32 v0, 7, v0
	v_mad_u64_u32 v[2:3], null, v0, 24, v[6:7]
	v_and_b32_e32 v0, 64, v87
	v_cmp_eq_u32_e64 s4, 0, v0
	flat_load_dwordx2 v[4:5], v[2:3] offset:8 glc dlc
	s_waitcnt vmcnt(0) lgkmcnt(0)
	v_cmp_ne_u64_e32 vcc_lo, -1, v[4:5]
	s_and_b32 s4, vcc_lo, s4
	s_and_b32 exec_lo, exec_lo, s4
	s_cbranch_execz .LBB2_1285
; %bb.1277:
	s_mov_b32 s11, 0
                                        ; implicit-def: $sgpr4
                                        ; implicit-def: $sgpr10
	s_inst_prefetch 0x1
	s_branch .LBB2_1280
	.p2align	6
.LBB2_1278:                             ;   in Loop: Header=BB2_1280 Depth=1
	flat_load_dwordx2 v[4:5], v[2:3] offset:8 glc dlc
	s_waitcnt vmcnt(0)
	s_andn2_b32 s10, s10, exec_lo
	s_waitcnt lgkmcnt(0)
	v_cmp_eq_u64_e32 vcc_lo, -1, v[4:5]
	s_orn2_b32 s13, vcc_lo, exec_lo
.LBB2_1279:                             ;   in Loop: Header=BB2_1280 Depth=1
	s_or_b32 exec_lo, exec_lo, s14
	s_and_b32 s12, exec_lo, s13
	s_or_b32 s7, s12, s7
	s_andn2_b32 s4, s4, exec_lo
	s_and_b32 s12, s10, exec_lo
	s_or_b32 s4, s4, s12
	s_andn2_b32 exec_lo, exec_lo, s7
	s_cbranch_execz .LBB2_1283
.LBB2_1280:                             ; =>This Inner Loop Header: Depth=1
	s_cmpk_lt_i32 s11, 0x270f
	s_cselect_b32 s12, -1, 0
	s_and_b32 vcc_lo, exec_lo, s12
	s_cbranch_vccnz .LBB2_1282
; %bb.1281:                             ;   in Loop: Header=BB2_1280 Depth=1
	s_trap 2
	ds_read_b64 v[4:5], v0
	s_andn2_b32 s12, s12, exec_lo
	s_mov_b32 s11, 0
	s_waitcnt lgkmcnt(0)
	s_waitcnt_vscnt null, 0x0
	flat_load_dword v0, v[4:5] glc dlc
	s_waitcnt vmcnt(0) lgkmcnt(0)
	buffer_gl1_inv
	buffer_gl0_inv
	v_cmp_eq_u32_e32 vcc_lo, 0, v0
	s_and_b32 s13, vcc_lo, exec_lo
	s_or_b32 s12, s12, s13
	s_mov_b32 s13, -1
	s_or_b32 s10, s10, exec_lo
	s_and_saveexec_b32 s14, s12
	s_cbranch_execz .LBB2_1279
	s_branch .LBB2_1278
	.p2align	6
.LBB2_1282:                             ;   in Loop: Header=BB2_1280 Depth=1
	s_add_i32 s11, s11, 1
                                        ; implicit-def: $vgpr0
	s_mov_b32 s13, -1
	s_or_b32 s10, s10, exec_lo
	s_and_saveexec_b32 s14, s12
	s_cbranch_execz .LBB2_1279
	s_branch .LBB2_1278
.LBB2_1283:
	s_inst_prefetch 0x2
	s_or_b32 exec_lo, exec_lo, s7
	s_and_saveexec_b32 s7, s4
	s_xor_b32 s7, exec_lo, s7
	s_cbranch_execz .LBB2_1285
; %bb.1284:
	s_waitcnt_vscnt null, 0x0
	ds_write_b32 v0, v0
	s_trap 2
.LBB2_1285:
	s_or_b32 exec_lo, exec_lo, s6
	v_and_b32_e32 v0, 0x2000, v87
	s_mov_b32 s4, exec_lo
	v_cmpx_ne_u32_e32 0, v0
	s_cbranch_execz .LBB2_1287
; %bb.1286:
	s_trap 2
	ds_read_b64 v[2:3], v0
	s_waitcnt lgkmcnt(0)
	flat_store_dwordx2 v[16:17], v[2:3] offset:16
.LBB2_1287:
	s_or_b32 exec_lo, exec_lo, s4
	v_cmp_ne_u32_e32 vcc_lo, 32, v1
	s_and_b32 exec_lo, exec_lo, vcc_lo
	s_cbranch_execz .LBB2_1305
; %bb.1288:
	s_waitcnt vmcnt(0)
	v_cmp_ne_u32_sdwa s4, v1, v86 src0_sel:DWORD src1_sel:WORD_0
	s_and_saveexec_b32 s6, s4
	s_xor_b32 s4, exec_lo, s6
	s_cbranch_execz .LBB2_1303
; %bb.1289:
	v_and_b32_e32 v0, 31, v31
	s_mov_b32 s6, exec_lo
	v_cmpx_eq_u32_e32 0, v0
	s_cbranch_execz .LBB2_1302
; %bb.1290:
	s_mov_b32 s10, exec_lo
	s_mov_b32 s7, exec_lo
	v_mbcnt_lo_u32_b32 v0, s10, 0
	s_waitcnt lgkmcnt(0)
	s_waitcnt_vscnt null, 0x0
	buffer_gl1_inv
	buffer_gl0_inv
	v_cmpx_eq_u32_e32 0, v0
	s_cbranch_execz .LBB2_1292
; %bb.1291:
	s_bcnt1_i32_b32 s10, s10
	v_mov_b32_e32 v3, 0
	v_mov_b32_e32 v2, s10
	ds_add_u64 v0, v[2:3]
	s_trap 2
.LBB2_1292:
	s_or_b32 exec_lo, exec_lo, s7
	s_trap 2
	ds_read_b64 v[2:3], v0
	s_waitcnt lgkmcnt(0)
	buffer_gl0_inv
	v_lshrrev_b32_e32 v0, 5, v1
	s_mov_b32 s7, exec_lo
	v_add_co_u32 v0, vcc_lo, v12, v0
	v_add_co_ci_u32_e64 v1, null, 0, v13, vcc_lo
	v_cmpx_lt_u64_e64 v[2:3], v[0:1]
	s_cbranch_execz .LBB2_1301
; %bb.1293:
	s_mov_b32 s10, 0
	s_mov_b32 s13, 0
                                        ; implicit-def: $sgpr11
                                        ; implicit-def: $sgpr12
	s_inst_prefetch 0x1
	s_branch .LBB2_1295
	.p2align	6
.LBB2_1294:                             ;   in Loop: Header=BB2_1295 Depth=1
	s_or_b32 exec_lo, exec_lo, s15
	s_and_b32 s14, exec_lo, s16
	s_or_b32 s10, s14, s10
	s_andn2_b32 s11, s11, exec_lo
	s_and_b32 s14, s12, exec_lo
	s_or_b32 s11, s11, s14
	s_andn2_b32 exec_lo, exec_lo, s10
	s_cbranch_execz .LBB2_1299
.LBB2_1295:                             ; =>This Inner Loop Header: Depth=1
	s_add_i32 s13, s13, 1
	s_cmpk_lg_i32 s13, 0x2710
	s_cselect_b32 s14, -1, 0
	s_and_b32 vcc_lo, exec_lo, s14
	s_cbranch_vccz .LBB2_1297
; %bb.1296:                             ;   in Loop: Header=BB2_1295 Depth=1
	s_mov_b32 s16, -1
	s_or_b32 s12, s12, exec_lo
	s_and_saveexec_b32 s15, s14
	s_cbranch_execz .LBB2_1294
	s_branch .LBB2_1298
.LBB2_1297:                             ;   in Loop: Header=BB2_1295 Depth=1
	s_trap 2
	ds_read_b64 v[2:3], v0
	s_andn2_b32 s14, s14, exec_lo
	s_mov_b32 s13, 0
	s_waitcnt lgkmcnt(0)
	flat_load_dword v2, v[2:3] glc dlc
	s_waitcnt vmcnt(0) lgkmcnt(0)
	buffer_gl1_inv
	buffer_gl0_inv
	v_cmp_eq_u32_e32 vcc_lo, 0, v2
	s_and_b32 s15, vcc_lo, exec_lo
	s_or_b32 s14, s14, s15
	s_mov_b32 s16, -1
	s_or_b32 s12, s12, exec_lo
	s_and_saveexec_b32 s15, s14
	s_cbranch_execz .LBB2_1294
.LBB2_1298:                             ;   in Loop: Header=BB2_1295 Depth=1
	s_sleep 1
	s_trap 2
	ds_read_b64 v[2:3], v0
	s_waitcnt lgkmcnt(0)
	buffer_gl0_inv
	s_andn2_b32 s12, s12, exec_lo
	v_cmp_ge_u64_e32 vcc_lo, v[2:3], v[0:1]
	s_orn2_b32 s16, vcc_lo, exec_lo
	s_branch .LBB2_1294
.LBB2_1299:
	s_inst_prefetch 0x2
	s_or_b32 exec_lo, exec_lo, s10
	s_and_saveexec_b32 s10, s11
	s_xor_b32 s10, exec_lo, s10
	s_cbranch_execz .LBB2_1301
; %bb.1300:
	v_mov_b32_e32 v0, 1
	ds_write_b32 v0, v0
	s_trap 2
.LBB2_1301:
	s_or_b32 exec_lo, exec_lo, s7
	;;#ASMSTART
	s_wakeup
	;;#ASMEND
.LBB2_1302:
	s_or_b32 exec_lo, exec_lo, s6
.LBB2_1303:
	s_andn2_saveexec_b32 s4, s4
	s_cbranch_execz .LBB2_1305
; %bb.1304:
	s_waitcnt lgkmcnt(0)
	s_waitcnt_vscnt null, 0x0
	buffer_gl1_inv
	buffer_gl0_inv
	s_barrier
.LBB2_1305:
	s_or_b32 exec_lo, exec_lo, s5
.LBB2_1306:
	s_andn2_saveexec_b32 s25, s40
	s_cbranch_execz .LBB2_1308
; %bb.1307:
	s_getpc_b64 s[4:5]
	s_add_u32 s4, s4, __PRETTY_FUNCTION__._ZN10PrimitivesIm14FuncSumPostDivImE12FanSymmetricILi1EELi0E11ProtoSimpleILi2ELi2ELi0ELi1ELi0ELi0EELi0ELb0ELi0ELi0ELi0EEC2EiiPKiS8_PKvPvmhhhP15ncclDevWorkCollP14ncclDevWorkP2pii@rel32@lo+4
	s_addc_u32 s5, s5, __PRETTY_FUNCTION__._ZN10PrimitivesIm14FuncSumPostDivImE12FanSymmetricILi1EELi0E11ProtoSimpleILi2ELi2ELi0ELi1ELi0ELi0EELi0ELb0ELi0ELi0ELi0EEC2EiiPKiS8_PKvPvmhhhP15ncclDevWorkCollP14ncclDevWorkP2pii@rel32@hi+12
	v_mov_b32_e32 v0, s4
	v_mov_b32_e32 v1, s5
	s_getpc_b64 s[6:7]
	s_add_u32 s6, s6, __assert_fail@rel32@lo+4
	s_addc_u32 s7, s7, __assert_fail@rel32@hi+12
	s_swappc_b64 s[30:31], s[6:7]
	; divergent unreachable
.LBB2_1308:
	s_or_b32 exec_lo, exec_lo, s25
	s_clause 0x1e
	buffer_load_dword v94, off, s[0:3], s33
	buffer_load_dword v93, off, s[0:3], s33 offset:4
	buffer_load_dword v92, off, s[0:3], s33 offset:8
	;; [unrolled: 1-line block ×30, first 2 shown]
	v_readlane_b32 s30, v95, 0
	v_readlane_b32 s31, v95, 1
	s_mov_b32 s32, s33
	s_or_saveexec_b32 s4, -1
	buffer_load_dword v95, off, s[0:3], s33 offset:124 ; 4-byte Folded Reload
	s_mov_b32 exec_lo, s4
	s_mov_b32 s33, s90
	s_waitcnt vmcnt(0) lgkmcnt(0)
	s_setpc_b64 s[30:31]
.Lfunc_end2:
	.size	_ZN12_GLOBAL__N_17runRingIm14FuncSumPostDivImE11ProtoSimpleILi2ELi2ELi0ELi1ELi0ELi0EELi0ELi0ELi1ELi0EEEviiP15ncclDevWorkColl, .Lfunc_end2-_ZN12_GLOBAL__N_17runRingIm14FuncSumPostDivImE11ProtoSimpleILi2ELi2ELi0ELi1ELi0ELi0EELi0ELi0ELi1ELi0EEEviiP15ncclDevWorkColl
                                        ; -- End function
	.set .L_ZN12_GLOBAL__N_17runRingIm14FuncSumPostDivImE11ProtoSimpleILi2ELi2ELi0ELi1ELi0ELi0EELi0ELi0ELi1ELi0EEEviiP15ncclDevWorkColl.num_vgpr, max(120, .L__assert_fail.num_vgpr)
	.set .L_ZN12_GLOBAL__N_17runRingIm14FuncSumPostDivImE11ProtoSimpleILi2ELi2ELi0ELi1ELi0ELi0EELi0ELi0ELi1ELi0EEEviiP15ncclDevWorkColl.num_agpr, max(0, .L__assert_fail.num_agpr)
	.set .L_ZN12_GLOBAL__N_17runRingIm14FuncSumPostDivImE11ProtoSimpleILi2ELi2ELi0ELi1ELi0ELi0EELi0ELi0ELi1ELi0EEEviiP15ncclDevWorkColl.numbered_sgpr, max(91, .L__assert_fail.numbered_sgpr)
	.set .L_ZN12_GLOBAL__N_17runRingIm14FuncSumPostDivImE11ProtoSimpleILi2ELi2ELi0ELi1ELi0ELi0EELi0ELi0ELi1ELi0EEEviiP15ncclDevWorkColl.num_named_barrier, max(0, .L__assert_fail.num_named_barrier)
	.set .L_ZN12_GLOBAL__N_17runRingIm14FuncSumPostDivImE11ProtoSimpleILi2ELi2ELi0ELi1ELi0ELi0EELi0ELi0ELi1ELi0EEEviiP15ncclDevWorkColl.private_seg_size, 144+max(.L__assert_fail.private_seg_size)
	.set .L_ZN12_GLOBAL__N_17runRingIm14FuncSumPostDivImE11ProtoSimpleILi2ELi2ELi0ELi1ELi0ELi0EELi0ELi0ELi1ELi0EEEviiP15ncclDevWorkColl.uses_vcc, or(1, .L__assert_fail.uses_vcc)
	.set .L_ZN12_GLOBAL__N_17runRingIm14FuncSumPostDivImE11ProtoSimpleILi2ELi2ELi0ELi1ELi0ELi0EELi0ELi0ELi1ELi0EEEviiP15ncclDevWorkColl.uses_flat_scratch, or(1, .L__assert_fail.uses_flat_scratch)
	.set .L_ZN12_GLOBAL__N_17runRingIm14FuncSumPostDivImE11ProtoSimpleILi2ELi2ELi0ELi1ELi0ELi0EELi0ELi0ELi1ELi0EEEviiP15ncclDevWorkColl.has_dyn_sized_stack, or(0, .L__assert_fail.has_dyn_sized_stack)
	.set .L_ZN12_GLOBAL__N_17runRingIm14FuncSumPostDivImE11ProtoSimpleILi2ELi2ELi0ELi1ELi0ELi0EELi0ELi0ELi1ELi0EEEviiP15ncclDevWorkColl.has_recursion, or(1, .L__assert_fail.has_recursion)
	.set .L_ZN12_GLOBAL__N_17runRingIm14FuncSumPostDivImE11ProtoSimpleILi2ELi2ELi0ELi1ELi0ELi0EELi0ELi0ELi1ELi0EEEviiP15ncclDevWorkColl.has_indirect_call, or(0, .L__assert_fail.has_indirect_call)
	.section	.AMDGPU.csdata,"",@progbits
; Function info:
; codeLenInByte = 70872
; TotalNumSgprs: 93
; NumVgprs: 120
; ScratchSize: 208
; MemoryBound: 1
	.text
	.p2align	2                               ; -- Begin function _Z54ncclDevFunc_AllReduce_RING_SIMPLE_SumPostDiv_u64_0_0_1v
	.type	_Z54ncclDevFunc_AllReduce_RING_SIMPLE_SumPostDiv_u64_0_0_1v,@function
_Z54ncclDevFunc_AllReduce_RING_SIMPLE_SumPostDiv_u64_0_0_1v: ; @_Z54ncclDevFunc_AllReduce_RING_SIMPLE_SumPostDiv_u64_0_0_1v
; %bb.0:
	s_waitcnt vmcnt(0) expcnt(0) lgkmcnt(0)
	s_mov_b32 vcc_hi, s33
	s_mov_b32 s33, s32
	s_or_saveexec_b32 s4, -1
	buffer_store_dword v43, off, s[0:3], s33 offset:16 ; 4-byte Folded Spill
	s_mov_b32 exec_lo, s4
	s_addk_i32 s32, 0x400
	buffer_store_dword v40, off, s[0:3], s33 offset:12 ; 4-byte Folded Spill
	buffer_store_dword v41, off, s[0:3], s33 offset:8 ; 4-byte Folded Spill
	;; [unrolled: 1-line block ×3, first 2 shown]
	buffer_store_dword v95, off, s[0:3], s33 ; 4-byte Folded Spill
	v_writelane_b32 v43, s30, 0
	v_writelane_b32 v43, s31, 1
	s_trap 2
	ds_read_b32 v0, v0
	v_mov_b32_e32 v40, v31
	s_mov_b32 s91, s12
	s_mov_b64 s[92:93], s[8:9]
	s_mov_b32 s4, exec_lo
	v_and_b32_e32 v41, 0x3ff, v40
	s_waitcnt lgkmcnt(0)
	v_cmpx_lt_i32_e64 v41, v0
	s_cbranch_execz .LBB3_5
; %bb.1:
	s_load_dword s5, s[92:93], 0x0
	v_mov_b32_e32 v1, 0
	v_mov_b32_e32 v3, v41
                                        ; implicit-def: $vgpr4
	s_waitcnt lgkmcnt(0)
	s_cmp_lt_u32 s91, s5
	s_cselect_b32 s5, 12, 18
	s_add_u32 s6, s92, s5
	s_addc_u32 s7, s93, 0
	s_mov_b32 s5, 0
	global_load_ushort v1, v1, s[6:7]
	s_trap 2
	ds_read_b32 v2, v0
	s_waitcnt vmcnt(0) lgkmcnt(0)
	v_mul_lo_u32 v2, v2, v1
	s_branch .LBB3_3
	.p2align	6
.LBB3_2:                                ;   in Loop: Header=BB3_3 Depth=1
	s_or_b32 exec_lo, exec_lo, s6
	v_add_nc_u32_e32 v3, v3, v1
	v_add_nc_u32_e32 v4, v4, v2
	v_cmp_ge_i32_e32 vcc_lo, v3, v0
	s_or_b32 s5, vcc_lo, s5
	s_andn2_b32 exec_lo, exec_lo, s5
	s_cbranch_execz .LBB3_5
.LBB3_3:                                ; =>This Inner Loop Header: Depth=1
	ds_read_b32 v5, v4
	s_mov_b32 s6, exec_lo
	s_waitcnt lgkmcnt(0)
	v_and_b32_e32 v5, 0x1000000, v5
	v_cmpx_ne_u32_e32 0, v5
	s_cbranch_execz .LBB3_2
; %bb.4:                                ;   in Loop: Header=BB3_3 Depth=1
	ds_read_b64 v[5:6], v4 offset:104
	s_waitcnt lgkmcnt(0)
	flat_load_dwordx2 v[5:6], v[5:6]
	s_waitcnt vmcnt(0) lgkmcnt(0)
	ds_write_b64 v4, v[5:6] offset:104
	s_branch .LBB3_2
.LBB3_5:
	s_or_b32 exec_lo, exec_lo, s4
	s_waitcnt lgkmcnt(0)
	s_waitcnt_vscnt null, 0x0
	s_barrier
	buffer_gl0_inv
	s_trap 2
	ds_read_b32 v0, v0
	s_waitcnt lgkmcnt(0)
	v_cmp_gt_i32_e32 vcc_lo, 1, v0
	s_cbranch_vccnz .LBB3_13
; %bb.6:
	v_mov_b32_e32 v42, 5
	s_mov_b32 s94, 0
	s_inst_prefetch 0x1
	s_branch .LBB3_8
	.p2align	6
.LBB3_7:                                ;   in Loop: Header=BB3_8 Depth=1
	s_or_b32 exec_lo, exec_lo, s95
	s_trap 2
	ds_read_b32 v0, v0
	s_add_i32 s94, s94, 1
	s_waitcnt lgkmcnt(0)
	v_cmp_lt_i32_e32 vcc_lo, s94, v0
	s_cbranch_vccz .LBB3_13
.LBB3_8:                                ; =>This Inner Loop Header: Depth=1
	s_trap 2
	ds_read_b32 v0, v0
	s_cmp_eq_u32 s94, 0
	s_cbranch_scc1 .LBB3_11
; %bb.9:                                ;   in Loop: Header=BB3_8 Depth=1
	s_trap 2
	s_waitcnt lgkmcnt(0)
	ds_read_b32 v1, v0
	s_waitcnt lgkmcnt(0)
	v_xor_b32_e32 v1, v1, v0
	v_and_b32_e32 v1, 0xff0000, v1
	v_cmp_eq_u32_e32 vcc_lo, 0, v1
	s_cbranch_vccnz .LBB3_11
; %bb.10:                               ;   in Loop: Header=BB3_8 Depth=1
	s_barrier
	buffer_gl0_inv
	ds_read_b32 v0, v0
.LBB3_11:                               ;   in Loop: Header=BB3_8 Depth=1
	s_waitcnt lgkmcnt(0)
	v_lshlrev_b32_sdwa v1, v42, v0 dst_sel:DWORD dst_unused:UNUSED_PAD src0_sel:DWORD src1_sel:BYTE_2
	s_mov_b32 s95, exec_lo
	v_cmpx_lt_u32_e64 v41, v1
	s_cbranch_execz .LBB3_7
; %bb.12:                               ;   in Loop: Header=BB3_8 Depth=1
	s_mov_b64 s[4:5], src_shared_base
	v_mov_b32_e32 v31, v40
	v_mov_b32_e32 v0, v41
	;; [unrolled: 1-line block ×3, first 2 shown]
	s_getpc_b64 s[6:7]
	s_add_u32 s6, s6, _ZN12_GLOBAL__N_17runRingIm14FuncSumPostDivImE11ProtoSimpleILi2ELi2ELi0ELi1ELi0ELi0EELi0ELi0ELi1ELi0EEEviiP15ncclDevWorkColl@rel32@lo+4
	s_addc_u32 s7, s7, _ZN12_GLOBAL__N_17runRingIm14FuncSumPostDivImE11ProtoSimpleILi2ELi2ELi0ELi1ELi0ELi0EELi0ELi0ELi1ELi0EEEviiP15ncclDevWorkColl@rel32@hi+12
	s_mov_b64 s[8:9], s[92:93]
	s_mov_b32 s12, s91
	s_swappc_b64 s[30:31], s[6:7]
	s_branch .LBB3_7
.LBB3_13:
	s_inst_prefetch 0x2
	s_clause 0x3
	buffer_load_dword v95, off, s[0:3], s33
	buffer_load_dword v42, off, s[0:3], s33 offset:4
	buffer_load_dword v41, off, s[0:3], s33 offset:8
	;; [unrolled: 1-line block ×3, first 2 shown]
	v_readlane_b32 s30, v43, 0
	v_readlane_b32 s31, v43, 1
	s_mov_b32 s32, s33
	s_or_saveexec_b32 s4, -1
	buffer_load_dword v43, off, s[0:3], s33 offset:16 ; 4-byte Folded Reload
	s_mov_b32 exec_lo, s4
	s_mov_b32 s33, vcc_hi
	s_waitcnt vmcnt(0)
	s_setpc_b64 s[30:31]
.Lfunc_end3:
	.size	_Z54ncclDevFunc_AllReduce_RING_SIMPLE_SumPostDiv_u64_0_0_1v, .Lfunc_end3-_Z54ncclDevFunc_AllReduce_RING_SIMPLE_SumPostDiv_u64_0_0_1v
                                        ; -- End function
	.set .L_Z54ncclDevFunc_AllReduce_RING_SIMPLE_SumPostDiv_u64_0_0_1v.num_vgpr, max(96, .L_ZN12_GLOBAL__N_17runRingIm14FuncSumPostDivImE11ProtoSimpleILi2ELi2ELi0ELi1ELi0ELi0EELi0ELi0ELi1ELi0EEEviiP15ncclDevWorkColl.num_vgpr)
	.set .L_Z54ncclDevFunc_AllReduce_RING_SIMPLE_SumPostDiv_u64_0_0_1v.num_agpr, max(0, .L_ZN12_GLOBAL__N_17runRingIm14FuncSumPostDivImE11ProtoSimpleILi2ELi2ELi0ELi1ELi0ELi0EELi0ELi0ELi1ELi0EEEviiP15ncclDevWorkColl.num_agpr)
	.set .L_Z54ncclDevFunc_AllReduce_RING_SIMPLE_SumPostDiv_u64_0_0_1v.numbered_sgpr, max(96, .L_ZN12_GLOBAL__N_17runRingIm14FuncSumPostDivImE11ProtoSimpleILi2ELi2ELi0ELi1ELi0ELi0EELi0ELi0ELi1ELi0EEEviiP15ncclDevWorkColl.numbered_sgpr)
	.set .L_Z54ncclDevFunc_AllReduce_RING_SIMPLE_SumPostDiv_u64_0_0_1v.num_named_barrier, max(0, .L_ZN12_GLOBAL__N_17runRingIm14FuncSumPostDivImE11ProtoSimpleILi2ELi2ELi0ELi1ELi0ELi0EELi0ELi0ELi1ELi0EEEviiP15ncclDevWorkColl.num_named_barrier)
	.set .L_Z54ncclDevFunc_AllReduce_RING_SIMPLE_SumPostDiv_u64_0_0_1v.private_seg_size, 32+max(.L_ZN12_GLOBAL__N_17runRingIm14FuncSumPostDivImE11ProtoSimpleILi2ELi2ELi0ELi1ELi0ELi0EELi0ELi0ELi1ELi0EEEviiP15ncclDevWorkColl.private_seg_size)
	.set .L_Z54ncclDevFunc_AllReduce_RING_SIMPLE_SumPostDiv_u64_0_0_1v.uses_vcc, or(1, .L_ZN12_GLOBAL__N_17runRingIm14FuncSumPostDivImE11ProtoSimpleILi2ELi2ELi0ELi1ELi0ELi0EELi0ELi0ELi1ELi0EEEviiP15ncclDevWorkColl.uses_vcc)
	.set .L_Z54ncclDevFunc_AllReduce_RING_SIMPLE_SumPostDiv_u64_0_0_1v.uses_flat_scratch, or(0, .L_ZN12_GLOBAL__N_17runRingIm14FuncSumPostDivImE11ProtoSimpleILi2ELi2ELi0ELi1ELi0ELi0EELi0ELi0ELi1ELi0EEEviiP15ncclDevWorkColl.uses_flat_scratch)
	.set .L_Z54ncclDevFunc_AllReduce_RING_SIMPLE_SumPostDiv_u64_0_0_1v.has_dyn_sized_stack, or(0, .L_ZN12_GLOBAL__N_17runRingIm14FuncSumPostDivImE11ProtoSimpleILi2ELi2ELi0ELi1ELi0ELi0EELi0ELi0ELi1ELi0EEEviiP15ncclDevWorkColl.has_dyn_sized_stack)
	.set .L_Z54ncclDevFunc_AllReduce_RING_SIMPLE_SumPostDiv_u64_0_0_1v.has_recursion, or(1, .L_ZN12_GLOBAL__N_17runRingIm14FuncSumPostDivImE11ProtoSimpleILi2ELi2ELi0ELi1ELi0ELi0EELi0ELi0ELi1ELi0EEEviiP15ncclDevWorkColl.has_recursion)
	.set .L_Z54ncclDevFunc_AllReduce_RING_SIMPLE_SumPostDiv_u64_0_0_1v.has_indirect_call, or(0, .L_ZN12_GLOBAL__N_17runRingIm14FuncSumPostDivImE11ProtoSimpleILi2ELi2ELi0ELi1ELi0ELi0EELi0ELi0ELi1ELi0EEEviiP15ncclDevWorkColl.has_indirect_call)
	.section	.AMDGPU.csdata,"",@progbits
; Function info:
; codeLenInByte = 728
; TotalNumSgprs: 98
; NumVgprs: 120
; ScratchSize: 240
; MemoryBound: 0
	.text
	.p2align	2                               ; -- Begin function _ZN12_GLOBAL__N_17runRingIm14FuncSumPostDivImE11ProtoSimpleILi2ELi2ELi0ELi2ELi0ELi0EELi0ELi0ELi2ELi0EEEviiP15ncclDevWorkColl
	.type	_ZN12_GLOBAL__N_17runRingIm14FuncSumPostDivImE11ProtoSimpleILi2ELi2ELi0ELi2ELi0ELi0EELi0ELi0ELi2ELi0EEEviiP15ncclDevWorkColl,@function
_ZN12_GLOBAL__N_17runRingIm14FuncSumPostDivImE11ProtoSimpleILi2ELi2ELi0ELi2ELi0ELi0EELi0ELi0ELi2ELi0EEEviiP15ncclDevWorkColl: ; @_ZN12_GLOBAL__N_17runRingIm14FuncSumPostDivImE11ProtoSimpleILi2ELi2ELi0ELi2ELi0ELi0EELi0ELi0ELi2ELi0EEEviiP15ncclDevWorkColl
; %bb.0:
	s_waitcnt vmcnt(0) expcnt(0) lgkmcnt(0)
	s_mov_b32 s90, s33
	s_mov_b32 s33, s32
	s_or_saveexec_b32 s4, -1
	buffer_store_dword v93, off, s[0:3], s33 offset:116 ; 4-byte Folded Spill
	s_mov_b32 exec_lo, s4
	s_addk_i32 s32, 0x1000
	buffer_store_dword v40, off, s[0:3], s33 offset:112 ; 4-byte Folded Spill
	buffer_store_dword v41, off, s[0:3], s33 offset:108 ; 4-byte Folded Spill
	;; [unrolled: 1-line block ×28, first 2 shown]
	buffer_store_dword v92, off, s[0:3], s33 ; 4-byte Folded Spill
	v_writelane_b32 v93, s30, 0
	v_writelane_b32 v93, s31, 1
	s_trap 2
	flat_load_dword v9, v[2:3]
	ds_read_b32 v6, v0
                                        ; implicit-def: $vgpr28_vgpr29
                                        ; implicit-def: $vgpr14_vgpr15
                                        ; implicit-def: $vgpr4_vgpr5
	s_waitcnt lgkmcnt(0)
	v_readfirstlane_b32 s29, v6
	s_waitcnt vmcnt(0)
	v_cmp_ne_u32_sdwa s4, v6, v9 src0_sel:DWORD src1_sel:BYTE_0
	s_and_saveexec_b32 s5, s4
	s_xor_b32 s4, exec_lo, s5
	s_cbranch_execz .LBB4_6
; %bb.1:
	v_not_b32_sdwa v8, v9 dst_sel:DWORD dst_unused:UNUSED_PAD src0_sel:BYTE_0
	v_cmp_ne_u32_sdwa s5, v6, v9 src0_sel:DWORD src1_sel:BYTE_1
                                        ; implicit-def: $vgpr28_vgpr29
                                        ; implicit-def: $vgpr14_vgpr15
                                        ; implicit-def: $vgpr4_vgpr5
	s_and_saveexec_b32 s6, s5
	s_xor_b32 s5, exec_lo, s6
	s_cbranch_execz .LBB4_3
; %bb.2:
	s_clause 0x1
	flat_load_dwordx4 v[9:12], v[2:3] offset:72
	flat_load_dwordx2 v[4:5], v[2:3] offset:96
	v_add_nc_u32_e32 v6, v6, v8
                                        ; implicit-def: $vgpr8
	v_ashrrev_i32_e32 v7, 31, v6
	s_waitcnt vmcnt(1) lgkmcnt(1)
	v_mul_lo_u32 v7, v11, v7
	v_mad_u64_u32 v[14:15], null, v11, v6, v[9:10]
	v_mul_lo_u32 v6, v12, v6
	s_waitcnt vmcnt(0) lgkmcnt(0)
	v_lshrrev_b64 v[28:29], 15, v[4:5]
	v_mov_b32_e32 v4, v11
	v_mov_b32_e32 v5, v12
                                        ; implicit-def: $vgpr9
	v_add3_u32 v15, v6, v15, v7
.LBB4_3:
	s_andn2_saveexec_b32 s5, s5
	s_cbranch_execz .LBB4_5
; %bb.4:
	s_clause 0x1
	flat_load_dwordx4 v[10:13], v[2:3] offset:72
	flat_load_dwordx4 v[4:7], v[2:3] offset:88
	s_waitcnt vmcnt(0) lgkmcnt(0)
	v_add_nc_u32_sdwa v6, v9, v8 dst_sel:DWORD dst_unused:UNUSED_PAD src0_sel:BYTE_1 src1_sel:DWORD
	v_ashrrev_i32_e32 v8, 31, v6
	v_mul_lo_u32 v8, v12, v8
	v_mad_u64_u32 v[14:15], null, v12, v6, v[10:11]
	v_mul_lo_u32 v6, v13, v6
	v_lshrrev_b32_e32 v28, 4, v7
	v_add3_u32 v15, v6, v15, v8
.LBB4_5:
	s_or_b32 exec_lo, exec_lo, s5
.LBB4_6:
	s_andn2_saveexec_b32 s4, s4
	s_cbranch_execz .LBB4_8
; %bb.7:
	s_clause 0x1
	flat_load_dwordx2 v[6:7], v[2:3] offset:96
	flat_load_dwordx2 v[4:5], v[2:3] offset:72
	v_mov_b32_e32 v14, 0
	v_mov_b32_e32 v15, 0
	s_waitcnt vmcnt(1) lgkmcnt(1)
	v_lshlrev_b64 v[28:29], 6, v[6:7]
.LBB4_8:
	s_or_b32 exec_lo, exec_lo, s4
	s_trap 2
	ds_read_b64 v[6:7], v0
	s_mov_b32 s5, exec_lo
	s_waitcnt lgkmcnt(0)
	v_cmp_ne_u32_e32 vcc_lo, -1, v6
	v_cndmask_b32_e64 v34, 0, 1, vcc_lo
	v_cmp_ne_u32_e32 vcc_lo, -1, v7
	v_add_co_ci_u32_e64 v8, null, 0, v34, vcc_lo
	v_lshlrev_b32_e32 v6, 1, v8
	v_cmpx_le_u32_e64 v6, v1
	s_xor_b32 s28, exec_lo, s5
	s_cbranch_execz .LBB4_1294
; %bb.9:
	s_clause 0x3
	flat_load_dwordx4 v[10:13], v[2:3] offset:16
	flat_load_dwordx2 v[29:30], v[2:3] offset:104
	flat_load_ushort v7, v[2:3] offset:8
	flat_load_dword v6, v[2:3] offset:4
	s_trap 2
	s_load_dword s4, s[8:9], 0x0
	v_mov_b32_e32 v9, 0
	v_mov_b32_e32 v85, 4
	s_waitcnt lgkmcnt(0)
	s_cmp_lt_u32 s12, s4
	s_cselect_b32 s4, 12, 18
	s_add_u32 s4, s8, s4
	s_addc_u32 s5, s9, 0
	global_load_ushort v84, v9, s[4:5]
	ds_read_b32 v9, v0
	s_mov_b32 s5, exec_lo
	s_waitcnt lgkmcnt(0)
	v_readfirstlane_b32 s11, v9
	v_cmpx_ge_u32_e64 v0, v34
	s_cbranch_execz .LBB4_19
; %bb.10:
	v_cmp_ge_u32_e64 s4, v0, v8
                                        ; implicit-def: $vgpr85
	s_and_saveexec_b32 s6, s4
	s_xor_b32 s4, exec_lo, s6
	s_cbranch_execz .LBB4_16
; %bb.11:
	v_cndmask_b32_e64 v9, 0, 1, vcc_lo
	s_mov_b32 s6, exec_lo
	v_sub_nc_u32_e32 v9, v1, v9
	v_cmpx_ge_u32_e64 v0, v9
	s_xor_b32 s6, exec_lo, s6
; %bb.12:
                                        ; implicit-def: $vgpr8
; %bb.13:
	s_or_saveexec_b32 s6, s6
	v_mov_b32_e32 v85, 16
	s_xor_b32 exec_lo, exec_lo, s6
; %bb.14:
	v_sub_nc_u32_e32 v8, v1, v8
	v_cmp_lt_i32_e32 vcc_lo, v0, v8
	v_cndmask_b32_e64 v85, 32, 0, vcc_lo
; %bb.15:
	s_or_b32 exec_lo, exec_lo, s6
.LBB4_16:
	s_andn2_saveexec_b32 s4, s4
; %bb.17:
	v_mov_b32_e32 v85, 8
; %bb.18:
	s_or_b32 exec_lo, exec_lo, s4
.LBB4_19:
	s_or_b32 exec_lo, exec_lo, s5
	v_and_b32_e32 v8, 36, v85
	v_cmp_ne_u32_e32 vcc_lo, 0, v8
	v_mov_b32_e32 v8, -1
	s_and_saveexec_b32 s4, vcc_lo
	s_cbranch_execz .LBB4_21
; %bb.20:
	s_trap 2
	ds_read_b32 v8, v0
.LBB4_21:
	s_or_b32 exec_lo, exec_lo, s4
	v_and_b32_e32 v9, 24, v85
	s_mov_b32 s5, exec_lo
	v_cmpx_ne_u32_e32 0, v9
	s_cbranch_execz .LBB4_23
; %bb.22:
	s_trap 2
	s_waitcnt lgkmcnt(0)
	ds_read_b32 v8, v0
.LBB4_23:
	s_or_b32 exec_lo, exec_lo, s5
	s_waitcnt vmcnt(1)
	v_lshrrev_b64 v[16:17], 31, v[6:7]
	v_mov_b32_e32 v18, 0
	v_mov_b32_e32 v6, 0
	;; [unrolled: 1-line block ×4, first 2 shown]
                                        ; implicit-def: $vgpr86
                                        ; implicit-def: $vgpr36_vgpr37
                                        ; implicit-def: $vgpr22_vgpr23
                                        ; implicit-def: $vgpr26_vgpr27
                                        ; implicit-def: $vgpr20_vgpr21
	v_and_b32_e32 v32, 3, v16
                                        ; implicit-def: $vgpr16_vgpr17
	s_and_saveexec_b32 s4, vcc_lo
	s_cbranch_execz .LBB4_33
; %bb.24:
	s_trap 2
	ds_read_b64 v[6:7], v0
	s_waitcnt lgkmcnt(1)
	v_ashrrev_i32_e32 v9, 31, v8
	s_mov_b32 s5, exec_lo
	v_lshlrev_b64 v[16:17], 3, v[8:9]
	v_and_b32_e32 v9, 0xffff, v32
	s_waitcnt lgkmcnt(0)
	v_add_co_u32 v6, vcc_lo, v6, v16
	v_add_co_ci_u32_e64 v7, null, v7, v17, vcc_lo
                                        ; implicit-def: $vgpr16_vgpr17
	flat_load_dwordx2 v[6:7], v[6:7]
	s_waitcnt vmcnt(0) lgkmcnt(0)
	v_mad_u64_u32 v[24:25], null, 0xa8, v9, v[6:7]
	flat_load_dword v6, v[24:25] offset:640
	s_waitcnt vmcnt(0) lgkmcnt(0)
	v_cmpx_eq_u32_e32 1, v6
	s_cbranch_execz .LBB4_26
; %bb.25:
	flat_load_dwordx2 v[16:17], v[24:25] offset:648
	v_or_b32_e32 v85, 0x2000, v85
	s_waitcnt vmcnt(0) lgkmcnt(0)
	flat_load_dwordx2 v[6:7], v[16:17]
	s_trap 2
	s_waitcnt vmcnt(0) lgkmcnt(0)
	ds_write_b64 v0, v[6:7]
	flat_load_dwordx2 v[6:7], v[16:17] offset:8
	s_waitcnt vmcnt(0) lgkmcnt(0)
	ds_write_b64 v0, v[6:7]
	flat_load_dwordx2 v[6:7], v[16:17] offset:16
	s_waitcnt vmcnt(0) lgkmcnt(0)
	ds_write_b64 v0, v[6:7]
.LBB4_26:
	s_or_b32 exec_lo, exec_lo, s5
	flat_load_dwordx2 v[6:7], v[24:25] offset:608
	v_and_b32_e32 v9, 32, v85
	s_mov_b32 s5, exec_lo
                                        ; implicit-def: $vgpr20_vgpr21
	s_waitcnt vmcnt(0) lgkmcnt(0)
	v_add_co_u32 v6, vcc_lo, v6, 3
	v_add_co_ci_u32_e64 v37, null, 0, v7, vcc_lo
	v_and_b32_e32 v36, -4, v6
	v_cmpx_ne_u32_e32 0, v9
	s_cbranch_execz .LBB4_28
; %bb.27:
	flat_load_dwordx2 v[20:21], v[24:25] offset:560
	s_waitcnt vmcnt(0) lgkmcnt(0)
	s_waitcnt_vscnt null, 0x0
	flat_store_dwordx2 v[20:21], v[36:37]
.LBB4_28:
	s_or_b32 exec_lo, exec_lo, s5
	v_add_co_u32 v18, vcc_lo, 0x1f8, v24
	v_mov_b32_e32 v6, 0
	v_and_b32_e32 v9, 4, v85
	v_add_co_ci_u32_e64 v19, null, 0, v25, vcc_lo
	v_mov_b32_e32 v7, 0
	s_mov_b32 s5, exec_lo
                                        ; implicit-def: $vgpr86
                                        ; implicit-def: $vgpr22_vgpr23
                                        ; implicit-def: $vgpr26_vgpr27
	v_cmpx_ne_u32_e32 0, v9
	s_cbranch_execz .LBB4_32
; %bb.29:
	v_and_b32_e32 v6, 0x800, v85
	s_mov_b32 s6, exec_lo
	v_cmpx_eq_u32_e32 0, v6
	s_cbranch_execz .LBB4_31
; %bb.30:
	s_trap 2
	ds_write_b64 v0, v[18:19]
.LBB4_31:
	s_or_b32 exec_lo, exec_lo, s6
	flat_load_dwordx2 v[20:21], v[24:25] offset:552
	s_waitcnt vmcnt(0) lgkmcnt(0)
	flat_load_dwordx2 v[26:27], v[20:21] glc dlc
	s_clause 0x2
	flat_load_dword v9, v[24:25] offset:576
	flat_load_dwordx2 v[6:7], v[24:25] offset:600
	flat_load_dwordx2 v[22:23], v[24:25] offset:520
	v_or_b32_e32 v24, 0x100, v85
	s_waitcnt vmcnt(2) lgkmcnt(2)
	v_ashrrev_i32_e32 v86, 3, v9
	s_waitcnt vmcnt(1) lgkmcnt(1)
	v_cmp_eq_u64_e32 vcc_lo, 0, v[6:7]
	v_cndmask_b32_e32 v85, v24, v85, vcc_lo
.LBB4_32:
	s_or_b32 exec_lo, exec_lo, s5
.LBB4_33:
	s_or_b32 exec_lo, exec_lo, s4
	v_and_b32_e32 v9, 24, v85
	s_mov_b32 s4, exec_lo
                                        ; implicit-def: $vgpr24_vgpr25
	v_cmpx_ne_u32_e32 0, v9
	s_cbranch_execz .LBB4_41
; %bb.34:
	s_trap 2
	ds_read_b64 v[6:7], v0
	s_waitcnt lgkmcnt(1)
	v_ashrrev_i32_e32 v9, 31, v8
	v_or_b32_e32 v24, 0x100, v85
	v_lshlrev_b64 v[8:9], 3, v[8:9]
	s_waitcnt lgkmcnt(0)
	v_add_co_u32 v6, vcc_lo, v6, v8
	v_add_co_ci_u32_e64 v7, null, v7, v9, vcc_lo
	v_and_b32_e32 v8, 0xffff, v32
	flat_load_dwordx2 v[6:7], v[6:7]
	s_waitcnt vmcnt(0) lgkmcnt(0)
	v_mad_u64_u32 v[18:19], null, 0xa8, v8, v[6:7]
	flat_load_dwordx4 v[6:9], v[18:19] offset:96
	s_waitcnt vmcnt(0) lgkmcnt(0)
	v_cmp_eq_u64_e32 vcc_lo, 0, v[6:7]
	v_cndmask_b32_e32 v85, v24, v85, vcc_lo
	v_and_b32_e32 v24, 16, v85
	v_cmp_ne_u32_e32 vcc_lo, 0, v24
                                        ; implicit-def: $vgpr24_vgpr25
	s_and_saveexec_b32 s5, vcc_lo
	s_cbranch_execz .LBB4_36
; %bb.35:
	s_clause 0x2
	flat_load_dwordx2 v[20:21], v[18:19] offset:48
	flat_load_dwordx2 v[24:25], v[18:19] offset:120
	flat_load_dwordx2 v[22:23], v[18:19] offset:16
.LBB4_36:
	s_or_b32 exec_lo, exec_lo, s5
	v_add_co_u32 v8, vcc_lo, v8, 3
	v_and_b32_e32 v32, 8, v85
	v_add_co_ci_u32_e64 v37, null, 0, v9, vcc_lo
	v_and_b32_e32 v36, -4, v8
	s_mov_b32 s5, exec_lo
	v_cmpx_ne_u32_e32 0, v32
	s_cbranch_execz .LBB4_40
; %bb.37:
	v_and_b32_e32 v8, 0x800, v85
	s_mov_b32 s6, exec_lo
	v_cmpx_eq_u32_e32 0, v8
	s_cbranch_execz .LBB4_39
; %bb.38:
	s_trap 2
	ds_write_b64 v0, v[18:19]
.LBB4_39:
	s_or_b32 exec_lo, exec_lo, s6
	s_waitcnt vmcnt(2) lgkmcnt(2)
	flat_load_dwordx2 v[20:21], v[18:19] offset:56
	s_waitcnt vmcnt(0) lgkmcnt(0)
	flat_load_dwordx2 v[26:27], v[20:21] glc dlc
	s_clause 0x1
	flat_load_dword v8, v[18:19] offset:72
	flat_load_dwordx2 v[22:23], v[18:19] offset:16
	s_waitcnt vmcnt(1) lgkmcnt(1)
	v_ashrrev_i32_e32 v86, 3, v8
.LBB4_40:
	s_or_b32 exec_lo, exec_lo, s5
.LBB4_41:
	s_or_b32 exec_lo, exec_lo, s4
	v_cmp_eq_u32_e64 s4, 0, v0
	s_and_saveexec_b32 s5, s4
	s_cbranch_execz .LBB4_43
; %bb.42:
	s_waitcnt lgkmcnt(0)
	flat_load_dwordx2 v[8:9], v[2:3] offset:32
	ds_write2_b64 v0, v[12:13], v[10:11] offset1:1
	s_trap 2
	s_waitcnt vmcnt(0) lgkmcnt(1)
	ds_write_b64 v0, v[8:9]
	ds_write_b64 v0, v[29:30]
.LBB4_43:
	s_or_b32 exec_lo, exec_lo, s5
	v_mov_b32_e32 v12, 0
	v_mov_b32_e32 v13, 0
	s_mov_b32 s40, exec_lo
	v_cmpx_lt_i64_e32 0, v[4:5]
	s_cbranch_execz .LBB4_1260
; %bb.44:
	s_waitcnt lgkmcnt(0)
	flat_load_dword v8, v[2:3] offset:4
	s_ashr_i32 s12, s11, 31
	v_lshrrev_b32_e32 v87, 5, v1
	s_lshr_b32 s12, s12, 29
	v_lshlrev_b32_e32 v10, 3, v1
	v_mov_b32_e32 v3, 0
	v_and_b32_e32 v96, 31, v0
	s_add_i32 s15, s11, s12
	v_and_b32_e32 v2, 0x7ffffc0, v28
	s_ashr_i32 s41, s29, 31
	v_lshlrev_b32_e32 v102, 9, v87
	s_ashr_i32 s15, s15, 6
	s_add_u32 s43, s29, -1
	v_and_b32_e32 v103, 0xff00, v10
	s_addc_u32 s44, s41, -1
	s_add_i32 s45, s29, s29
	s_not_b32 s16, s29
	v_cmp_lt_u32_e64 s13, v96, v34
	v_cmp_le_u32_e64 s14, v96, v34
	v_mov_b32_e32 v35, v3
	s_cmp_gt_i32 s29, 0
	v_mad_i64_i32 v[32:33], null, v2, s29, 0
	v_mov_b32_e32 v34, v2
	v_add_nc_u32_e32 v114, 0xfffffe00, v102
	s_cselect_b32 s16, s16, -1
	s_lshr_b32 s17, s15, 28
	v_add_nc_u32_e32 v115, 0xffffff00, v103
	s_add_i32 s15, s15, s17
	v_and_b32_e32 v9, 31, v31
	s_add_i32 s46, s16, s45
	s_ashr_i32 s56, s15, 4
	s_ashr_i32 s47, s46, 31
	v_ashrrev_i32_e32 v117, 31, v114
	s_cmp_gt_i32 s29, 2
	v_ashrrev_i32_e32 v118, 31, v115
	v_lshrrev_b32_e32 v97, 5, v0
	v_cmp_eq_u32_e64 s11, 0, v9
	v_lshlrev_b32_e32 v9, 4, v96
	s_cselect_b32 s57, -1, 0
	s_add_i32 s17, s29, 1
	v_add_co_u32 v119, s16, 0x200, v114
	v_add_co_ci_u32_e64 v40, null, 0, v117, s16
	v_add_co_u32 v41, s16, 0x100, v115
	v_cmp_ge_u32_e32 vcc_lo, v0, v1
	v_mov_b32_e32 v28, 0
	s_waitcnt vmcnt(2)
	v_cmp_eq_u64_e64 s7, 0, v[24:25]
	v_cmp_ne_u64_e64 s10, 0, v[24:25]
	v_mov_b32_e32 v12, 0
	v_add_co_ci_u32_e64 v42, null, 0, v118, s16
	v_ashrrev_i32_e32 v30, 31, v86
	v_cmp_eq_u32_e64 s5, 32, v1
	v_cmp_ne_u32_e64 s6, 32, v1
	s_waitcnt vmcnt(1)
	v_cmp_ne_u32_sdwa s42, v1, v84 src0_sel:DWORD src1_sel:WORD_0
	v_mov_b32_e32 v29, 0
	v_mov_b32_e32 v98, 1
	;; [unrolled: 1-line block ×5, first 2 shown]
	v_cmp_eq_u32_e64 s12, 0, v96
	v_lshlrev_b32_e32 v101, 11, v87
	v_lshlrev_b32_e32 v112, 10, v87
	v_lshl_or_b32 v113, v97, 10, v9
	v_lshl_or_b32 v116, v97, 11, v9
	s_mov_b32 s23, 0
	s_brev_b32 s25, 1
	s_mov_b32 s63, 0
	s_trap 2
	s_waitcnt vmcnt(0) lgkmcnt(0)
	v_and_b32_e32 v2, 1, v8
	v_cmp_eq_u32_e64 s15, 1, v2
	s_xor_b32 s58, s15, -1
	s_cmp_ge_i32 s17, s29
	s_cselect_b32 s16, s29, 0
	s_add_i32 s59, s29, -2
	s_sub_i32 s61, s17, s16
	s_xor_b32 s60, vcc_lo, -1
	s_ashr_i32 s26, s41, 31
	s_sub_i32 s62, 0, s29
	s_ashr_i32 s72, s61, 31
	s_branch .LBB4_47
.LBB4_45:                               ;   in Loop: Header=BB4_47 Depth=1
	s_or_b32 exec_lo, exec_lo, s18
.LBB4_46:                               ;   in Loop: Header=BB4_47 Depth=1
	s_or_b32 exec_lo, exec_lo, s17
	v_add_co_u32 v28, vcc_lo, v28, v32
	v_add_co_ci_u32_e64 v29, null, v29, v33, vcc_lo
	v_cmp_ge_i64_e32 vcc_lo, v[28:29], v[4:5]
	s_or_b32 s63, vcc_lo, s63
	s_andn2_b32 exec_lo, exec_lo, s63
	s_cbranch_execz .LBB4_1259
.LBB4_47:                               ; =>This Loop Header: Depth=1
                                        ;     Child Loop BB4_57 Depth 2
                                        ;       Child Loop BB4_65 Depth 3
                                        ;       Child Loop BB4_89 Depth 3
	;; [unrolled: 1-line block ×9, first 2 shown]
                                        ;     Child Loop BB4_199 Depth 2
                                        ;       Child Loop BB4_205 Depth 3
                                        ;       Child Loop BB4_229 Depth 3
	;; [unrolled: 1-line block ×3, first 2 shown]
                                        ;     Child Loop BB4_273 Depth 2
                                        ;       Child Loop BB4_276 Depth 3
                                        ;         Child Loop BB4_284 Depth 4
                                        ;         Child Loop BB4_312 Depth 4
	;; [unrolled: 1-line block ×9, first 2 shown]
                                        ;       Child Loop BB4_422 Depth 3
                                        ;         Child Loop BB4_428 Depth 4
                                        ;         Child Loop BB4_456 Depth 4
	;; [unrolled: 1-line block ×3, first 2 shown]
                                        ;     Child Loop BB4_497 Depth 2
                                        ;       Child Loop BB4_505 Depth 3
                                        ;       Child Loop BB4_533 Depth 3
	;; [unrolled: 1-line block ×5, first 2 shown]
                                        ;         Child Loop BB4_597 Depth 4
                                        ;       Child Loop BB4_611 Depth 3
                                        ;       Child Loop BB4_621 Depth 3
                                        ;         Child Loop BB4_622 Depth 4
                                        ;       Child Loop BB4_642 Depth 3
                                        ;       Child Loop BB4_652 Depth 3
                                        ;       Child Loop BB4_665 Depth 3
                                        ;       Child Loop BB4_675 Depth 3
                                        ;       Child Loop BB4_684 Depth 3
                                        ;       Child Loop BB4_703 Depth 3
                                        ;     Child Loop BB4_722 Depth 2
                                        ;       Child Loop BB4_728 Depth 3
                                        ;       Child Loop BB4_756 Depth 3
	;; [unrolled: 1-line block ×3, first 2 shown]
                                        ;     Child Loop BB4_797 Depth 2
                                        ;       Child Loop BB4_800 Depth 3
                                        ;         Child Loop BB4_808 Depth 4
                                        ;         Child Loop BB4_836 Depth 4
	;; [unrolled: 1-line block ×5, first 2 shown]
                                        ;           Child Loop BB4_888 Depth 5
                                        ;         Child Loop BB4_895 Depth 4
                                        ;         Child Loop BB4_900 Depth 4
                                        ;           Child Loop BB4_901 Depth 5
                                        ;         Child Loop BB4_913 Depth 4
                                        ;         Child Loop BB4_918 Depth 4
	;; [unrolled: 1-line block ×6, first 2 shown]
                                        ;       Child Loop BB4_977 Depth 3
                                        ;         Child Loop BB4_983 Depth 4
                                        ;         Child Loop BB4_1011 Depth 4
	;; [unrolled: 1-line block ×3, first 2 shown]
                                        ;     Child Loop BB4_1055 Depth 2
                                        ;       Child Loop BB4_1063 Depth 3
                                        ;       Child Loop BB4_1087 Depth 3
	;; [unrolled: 1-line block ×9, first 2 shown]
                                        ;     Child Loop BB4_1193 Depth 2
                                        ;       Child Loop BB4_1199 Depth 3
                                        ;       Child Loop BB4_1223 Depth 3
	;; [unrolled: 1-line block ×3, first 2 shown]
	v_sub_co_u32 v38, vcc_lo, v4, v28
	v_sub_co_ci_u32_e64 v39, null, v5, v29, vcc_lo
	s_mov_b32 s17, exec_lo
	v_cmpx_lt_i64_e64 v[38:39], v[32:33]
	s_cbranch_execz .LBB4_53
; %bb.48:                               ;   in Loop: Header=BB4_47 Depth=1
	v_add_co_u32 v2, vcc_lo, s43, v38
	v_add_co_ci_u32_e64 v10, null, s44, v39, vcc_lo
	v_mov_b32_e32 v8, v3
	v_or_b32_e32 v9, s41, v10
	v_cmp_ne_u64_e32 vcc_lo, 0, v[8:9]
                                        ; implicit-def: $vgpr8_vgpr9
	s_and_saveexec_b32 s16, vcc_lo
	s_xor_b32 s20, exec_lo, s16
	s_cbranch_execz .LBB4_50
; %bb.49:                               ;   in Loop: Header=BB4_47 Depth=1
	s_add_u32 s18, s29, s26
	s_mov_b32 s27, s26
	s_addc_u32 s19, s41, s26
	v_ashrrev_i32_e32 v48, 31, v10
	s_xor_b64 s[18:19], s[18:19], s[26:27]
	v_cvt_f32_u32_e32 v8, s18
	v_cvt_f32_u32_e32 v9, s19
	s_sub_u32 s16, 0, s18
	s_subb_u32 s24, 0, s19
	v_add_co_u32 v2, vcc_lo, v2, v48
	v_fmac_f32_e32 v8, 0x4f800000, v9
	v_xor_b32_e32 v2, v2, v48
	v_rcp_f32_e32 v8, v8
	v_mul_f32_e32 v8, 0x5f7ffffc, v8
	v_mul_f32_e32 v9, 0x2f800000, v8
	v_trunc_f32_e32 v9, v9
	v_fmac_f32_e32 v8, 0xcf800000, v9
	v_cvt_u32_f32_e32 v9, v9
	v_cvt_u32_f32_e32 v8, v8
	v_readfirstlane_b32 s21, v9
	v_readfirstlane_b32 s22, v8
	s_mul_i32 s27, s16, s21
	v_add_co_ci_u32_e64 v8, null, v10, v48, vcc_lo
	s_mul_hi_u32 s74, s16, s22
	s_mul_i32 s73, s24, s22
	s_add_i32 s27, s74, s27
	s_mul_i32 s75, s16, s22
	s_add_i32 s27, s27, s73
	s_mul_hi_u32 s74, s22, s75
	s_mul_i32 s77, s22, s27
	s_mul_hi_u32 s76, s21, s75
	s_mul_i32 s73, s21, s75
	s_mul_hi_u32 s75, s22, s27
	s_add_u32 s74, s74, s77
	s_addc_u32 s75, 0, s75
	s_mul_hi_u32 s78, s21, s27
	s_add_u32 s73, s74, s73
	s_mul_i32 s27, s21, s27
	s_addc_u32 s73, s75, s76
	s_addc_u32 s74, s78, 0
	s_add_u32 s27, s73, s27
	s_addc_u32 s73, 0, s74
	s_add_u32 s22, s22, s27
	s_cselect_b32 s27, -1, 0
	s_mul_hi_u32 s74, s16, s22
	s_cmp_lg_u32 s27, 0
	s_mul_i32 s27, s16, s22
	s_addc_u32 s21, s21, s73
	s_mul_i32 s24, s24, s22
	s_mul_i32 s16, s16, s21
	s_mul_hi_u32 s73, s22, s27
	s_add_i32 s16, s74, s16
	s_mul_hi_u32 s74, s21, s27
	s_add_i32 s16, s16, s24
	s_mul_i32 s24, s21, s27
	s_mul_i32 s76, s22, s16
	s_mul_hi_u32 s75, s22, s16
	s_add_u32 s73, s73, s76
	s_addc_u32 s75, 0, s75
	s_mul_hi_u32 s27, s21, s16
	s_add_u32 s24, s73, s24
	s_mul_i32 s16, s21, s16
	s_addc_u32 s24, s75, s74
	s_addc_u32 s27, s27, 0
	s_add_u32 s16, s24, s16
	s_addc_u32 s24, 0, s27
	s_add_u32 s16, s22, s16
	s_cselect_b32 s22, -1, 0
	v_xor_b32_e32 v49, v8, v48
	s_cmp_lg_u32 s22, 0
	v_mul_hi_u32 v50, v2, s16
	s_addc_u32 s21, s21, s24
	v_mad_u64_u32 v[8:9], null, v2, s21, 0
	v_mad_u64_u32 v[10:11], null, v49, s16, 0
	;; [unrolled: 1-line block ×3, first 2 shown]
	v_add_co_u32 v8, vcc_lo, v50, v8
	v_add_co_ci_u32_e64 v9, null, 0, v9, vcc_lo
	v_add_co_u32 v8, vcc_lo, v8, v10
	v_add_co_ci_u32_e32 v8, vcc_lo, v9, v11, vcc_lo
	v_add_co_ci_u32_e32 v9, vcc_lo, 0, v35, vcc_lo
	v_add_co_u32 v10, vcc_lo, v8, v34
	v_add_co_ci_u32_e64 v11, null, 0, v9, vcc_lo
	v_mul_lo_u32 v34, s19, v10
	v_mad_u64_u32 v[8:9], null, s18, v10, 0
	v_mul_lo_u32 v35, s18, v11
	v_sub_co_u32 v2, vcc_lo, v2, v8
	v_add3_u32 v9, v9, v35, v34
	v_sub_nc_u32_e32 v34, v49, v9
	v_sub_co_ci_u32_e64 v9, null, v49, v9, vcc_lo
	v_subrev_co_ci_u32_e64 v8, null, s19, v34, vcc_lo
	v_add_co_u32 v34, s16, v10, 2
	v_add_co_ci_u32_e64 v35, null, 0, v11, s16
	v_sub_co_u32 v50, s16, v2, s18
	v_subrev_co_ci_u32_e64 v8, null, 0, v8, s16
	v_cmp_le_u32_e32 vcc_lo, s18, v50
	v_cndmask_b32_e64 v49, 0, -1, vcc_lo
	v_cmp_le_u32_e32 vcc_lo, s19, v8
	v_cndmask_b32_e64 v50, 0, -1, vcc_lo
	;; [unrolled: 2-line block ×4, first 2 shown]
	v_cmp_eq_u32_e32 vcc_lo, s19, v8
	v_cndmask_b32_e32 v8, v50, v49, vcc_lo
	v_add_co_u32 v49, vcc_lo, v10, 1
	v_add_co_ci_u32_e64 v50, null, 0, v11, vcc_lo
	v_cmp_eq_u32_e32 vcc_lo, s19, v9
	v_xor_b32_e32 v9, s26, v48
	v_cndmask_b32_e32 v2, v51, v2, vcc_lo
	v_cmp_ne_u32_e32 vcc_lo, 0, v8
	v_cmp_ne_u32_e64 s16, 0, v2
	v_cndmask_b32_e32 v2, v49, v34, vcc_lo
	v_cndmask_b32_e32 v8, v50, v35, vcc_lo
	v_cndmask_b32_e64 v2, v10, v2, s16
	v_cndmask_b32_e64 v8, v11, v8, s16
	v_xor_b32_e32 v2, v2, v9
	v_xor_b32_e32 v10, v8, v9
	v_sub_co_u32 v8, vcc_lo, v2, v9
	v_sub_co_ci_u32_e64 v9, null, v10, v9, vcc_lo
                                        ; implicit-def: $vgpr2
.LBB4_50:                               ;   in Loop: Header=BB4_47 Depth=1
	s_andn2_saveexec_b32 s16, s20
	s_cbranch_execz .LBB4_52
; %bb.51:                               ;   in Loop: Header=BB4_47 Depth=1
	v_cvt_f32_u32_e32 v8, s29
	v_rcp_iflag_f32_e32 v8, v8
	v_mul_f32_e32 v8, 0x4f7ffffe, v8
	v_cvt_u32_f32_e32 v8, v8
	v_mul_lo_u32 v9, s62, v8
	v_mul_hi_u32 v9, v8, v9
	v_add_nc_u32_e32 v8, v8, v9
	v_mul_hi_u32 v8, v2, v8
	v_mul_lo_u32 v9, v8, s29
	v_sub_nc_u32_e32 v2, v2, v9
	v_add_nc_u32_e32 v9, 1, v8
	v_subrev_nc_u32_e32 v10, s29, v2
	v_cmp_le_u32_e32 vcc_lo, s29, v2
	v_cndmask_b32_e32 v2, v2, v10, vcc_lo
	v_cndmask_b32_e32 v8, v8, v9, vcc_lo
	v_cmp_le_u32_e32 vcc_lo, s29, v2
	v_add_nc_u32_e32 v9, 1, v8
	v_cndmask_b32_e32 v2, v8, v9, vcc_lo
	v_mov_b32_e32 v9, v3
	v_mov_b32_e32 v8, v2
.LBB4_52:                               ;   in Loop: Header=BB4_47 Depth=1
	s_or_b32 exec_lo, exec_lo, s16
	v_add_co_u32 v2, vcc_lo, v8, 1
	v_add_co_ci_u32_e64 v35, null, 0, v9, vcc_lo
	v_and_b32_e32 v34, -2, v2
.LBB4_53:                               ;   in Loop: Header=BB4_47 Depth=1
	s_or_b32 exec_lo, exec_lo, s17
	v_mul_lo_u32 v2, v35, s46
	v_mul_lo_u32 v8, v34, s47
	v_mad_u64_u32 v[50:51], null, v34, s46, 0
	v_mov_b32_e32 v10, 0
	v_add3_u32 v51, v51, v8, v2
	v_sub_co_u32 v8, vcc_lo, v38, v50
	v_sub_co_ci_u32_e64 v9, null, v39, v51, vcc_lo
	v_cmp_lt_i64_e32 vcc_lo, v[34:35], v[8:9]
	v_cndmask_b32_e32 v8, v8, v34, vcc_lo
	v_add_co_u32 v48, vcc_lo, v28, v14
	v_add_co_ci_u32_e64 v49, null, v29, v15, vcc_lo
	v_max_i32_e32 v68, 0, v8
	v_cmp_lt_i32_e32 vcc_lo, 0, v8
	v_add_nc_u32_e32 v2, 31, v68
	s_and_b32 s16, s60, vcc_lo
	v_lshrrev_b32_e32 v2, 1, v2
	v_and_b32_e32 v9, 0x3ffffff0, v2
	v_mov_b32_e32 v2, 0
	v_max_i32_e32 v8, s56, v9
	s_and_saveexec_b32 s18, s16
	s_cbranch_execz .LBB4_195
; %bb.54:                               ;   in Loop: Header=BB4_47 Depth=1
	v_lshlrev_b64 v[50:51], 3, v[50:51]
	v_mov_b32_e32 v10, 0
	s_mov_b32 s21, 1
	s_mov_b32 s20, -1
	s_mov_b32 s19, 0
	s_branch .LBB4_57
.LBB4_55:                               ;   in Loop: Header=BB4_57 Depth=2
	s_or_b32 exec_lo, exec_lo, s17
	v_add_co_u32 v36, vcc_lo, v36, 2
	v_add_co_ci_u32_e64 v37, null, 0, v37, vcc_lo
	s_waitcnt vmcnt(0) lgkmcnt(0)
	s_waitcnt_vscnt null, 0x0
	flat_store_dwordx2 v[20:21], v[36:37]
.LBB4_56:                               ;   in Loop: Header=BB4_57 Depth=2
	s_or_b32 exec_lo, exec_lo, s16
	v_add_nc_u32_e32 v10, v8, v10
	s_xor_b32 s16, s20, -1
	v_mov_b32_e32 v2, s21
	s_mov_b32 s20, 0
	s_mov_b32 s21, 2
	v_cmp_ge_i32_e32 vcc_lo, v10, v68
	s_or_b32 s16, s16, vcc_lo
	s_and_b32 s16, exec_lo, s16
	s_or_b32 s19, s16, s19
	s_andn2_b32 exec_lo, exec_lo, s19
	s_cbranch_execz .LBB4_194
.LBB4_57:                               ;   Parent Loop BB4_47 Depth=1
                                        ; =>  This Loop Header: Depth=2
                                        ;       Child Loop BB4_65 Depth 3
                                        ;       Child Loop BB4_89 Depth 3
	;; [unrolled: 1-line block ×9, first 2 shown]
	s_and_saveexec_b32 s16, s4
	s_cbranch_execz .LBB4_59
; %bb.58:                               ;   in Loop: Header=BB4_57 Depth=2
	s_trap 2
	ds_read_b64 v[52:53], v0
	v_lshlrev_b64 v[54:55], 3, v[48:49]
	v_ashrrev_i32_e32 v11, 31, v10
	s_waitcnt lgkmcnt(0)
	v_add_co_u32 v2, vcc_lo, v52, v54
	v_add_co_ci_u32_e64 v9, null, v53, v55, vcc_lo
	v_lshlrev_b64 v[52:53], 3, v[10:11]
	v_add_co_u32 v2, vcc_lo, v2, v50
	v_add_co_ci_u32_e64 v9, null, v9, v51, vcc_lo
	v_add_co_u32 v52, vcc_lo, v2, v52
	v_add_co_ci_u32_e64 v53, null, v9, v53, vcc_lo
	v_mov_b32_e32 v2, v3
	ds_write_b64 v0, v[52:53]
	ds_write_b64 v0, v[2:3]
.LBB4_59:                               ;   in Loop: Header=BB4_57 Depth=2
	s_or_b32 exec_lo, exec_lo, s16
	v_sub_nc_u32_e32 v2, v68, v10
	v_and_b32_e32 v9, 8, v85
	s_mov_b32 s17, exec_lo
	v_min_i32_e32 v8, v8, v2
	v_cmpx_ne_u32_e32 0, v9
	s_cbranch_execz .LBB4_81
; %bb.60:                               ;   in Loop: Header=BB4_57 Depth=2
	s_waitcnt vmcnt(0) lgkmcnt(1)
	v_add_co_u32 v54, vcc_lo, v26, 8
	v_add_co_ci_u32_e64 v55, null, 0, v27, vcc_lo
	v_add_co_u32 v52, vcc_lo, v36, 2
	v_add_co_ci_u32_e64 v53, null, 0, v37, vcc_lo
	s_mov_b32 s22, exec_lo
	v_cmpx_lt_u64_e64 v[54:55], v[52:53]
	s_cbranch_execz .LBB4_72
; %bb.61:                               ;   in Loop: Header=BB4_57 Depth=2
	v_and_b32_e32 v2, 64, v85
	s_mov_b32 s24, 0
	s_mov_b32 s75, 0
                                        ; implicit-def: $sgpr27
                                        ; implicit-def: $sgpr73
                                        ; implicit-def: $sgpr74
	v_cmp_eq_u32_e32 vcc_lo, 0, v2
	s_branch .LBB4_65
.LBB4_62:                               ;   in Loop: Header=BB4_65 Depth=3
	s_waitcnt vmcnt(0) lgkmcnt(0)
	v_add_co_u32 v54, s16, v26, 8
	v_add_co_ci_u32_e64 v55, null, 0, v27, s16
	s_or_b32 s78, s78, exec_lo
	v_cmp_ge_u64_e64 s16, v[54:55], v[52:53]
	s_orn2_b32 s77, s16, exec_lo
.LBB4_63:                               ;   in Loop: Header=BB4_65 Depth=3
	s_or_b32 exec_lo, exec_lo, s88
	s_andn2_b32 s16, s74, exec_lo
	s_and_b32 s74, s78, exec_lo
	s_andn2_b32 s73, s73, exec_lo
	s_and_b32 s77, s77, exec_lo
	s_or_b32 s74, s16, s74
	s_or_b32 s73, s73, s77
.LBB4_64:                               ;   in Loop: Header=BB4_65 Depth=3
	s_or_b32 exec_lo, exec_lo, s76
	s_and_b32 s16, exec_lo, s73
	s_or_b32 s24, s16, s24
	s_andn2_b32 s16, s27, exec_lo
	s_and_b32 s27, s74, exec_lo
	s_or_b32 s27, s16, s27
	s_andn2_b32 exec_lo, exec_lo, s24
	s_cbranch_execz .LBB4_69
.LBB4_65:                               ;   Parent Loop BB4_47 Depth=1
                                        ;     Parent Loop BB4_57 Depth=2
                                        ; =>    This Inner Loop Header: Depth=3
	s_sleep 1
	s_waitcnt vmcnt(0) lgkmcnt(0)
	flat_load_dwordx2 v[26:27], v[20:21] glc dlc
	s_or_b32 s74, s74, exec_lo
	s_or_b32 s73, s73, exec_lo
                                        ; implicit-def: $vgpr2
	s_and_saveexec_b32 s76, vcc_lo
	s_cbranch_execz .LBB4_64
; %bb.66:                               ;   in Loop: Header=BB4_65 Depth=3
	s_cmpk_lt_i32 s75, 0x270f
	s_mov_b32 s77, -1
	s_cselect_b32 s79, -1, 0
	s_cmpk_gt_i32 s75, 0x270e
	s_cbranch_scc0 .LBB4_68
; %bb.67:                               ;   in Loop: Header=BB4_65 Depth=3
	s_trap 2
	ds_read_b64 v[54:55], v0
	s_andn2_b32 s75, s79, exec_lo
	s_mov_b32 s78, 0
	s_waitcnt vmcnt(0) lgkmcnt(0)
	s_waitcnt_vscnt null, 0x0
	flat_load_dword v2, v[54:55] glc dlc
	s_waitcnt vmcnt(0) lgkmcnt(0)
	buffer_gl1_inv
	buffer_gl0_inv
	v_cmp_eq_u32_e64 s16, 0, v2
	s_and_b32 s16, s16, exec_lo
	s_or_b32 s79, s75, s16
	s_mov_b32 s75, 0
	s_and_saveexec_b32 s88, s79
	s_cbranch_execz .LBB4_63
	s_branch .LBB4_62
.LBB4_68:                               ;   in Loop: Header=BB4_65 Depth=3
	s_add_i32 s75, s75, 1
	s_mov_b32 s78, -1
                                        ; implicit-def: $vgpr2
	s_and_saveexec_b32 s88, s79
	s_cbranch_execz .LBB4_63
	s_branch .LBB4_62
.LBB4_69:                               ;   in Loop: Header=BB4_57 Depth=2
	s_or_b32 exec_lo, exec_lo, s24
	s_xor_b32 s16, s27, -1
	s_and_saveexec_b32 s24, s16
	s_xor_b32 s16, exec_lo, s24
	s_cbranch_execz .LBB4_71
; %bb.70:                               ;   in Loop: Header=BB4_57 Depth=2
	v_or_b32_e32 v85, 64, v85
	s_waitcnt vmcnt(0) lgkmcnt(0)
	s_waitcnt_vscnt null, 0x0
	ds_write_b32 v0, v2
	s_trap 2
.LBB4_71:                               ;   in Loop: Header=BB4_57 Depth=2
	s_or_b32 exec_lo, exec_lo, s16
.LBB4_72:                               ;   in Loop: Header=BB4_57 Depth=2
	s_or_b32 exec_lo, exec_lo, s22
	v_and_b32_e32 v2, 0x100, v85
	s_mov_b32 s22, 0
	s_mov_b32 s16, exec_lo
	;;#ASMSTART
	s_wakeup
	;;#ASMEND
                                        ; implicit-def: $vgpr54_vgpr55
	v_cmpx_ne_u32_e32 0, v2
	s_xor_b32 s16, exec_lo, s16
                                        ; implicit-def: $vgpr2
	s_cbranch_execz .LBB4_93
; %bb.73:                               ;   in Loop: Header=BB4_57 Depth=2
	v_and_b32_e32 v2, 7, v36
	v_ashrrev_i32_e32 v9, 31, v8
	s_mov_b32 s22, -1
	s_mov_b32 s24, exec_lo
	v_mad_u64_u32 v[36:37], null, v2, 24, v[6:7]
	v_lshlrev_b64 v[54:55], 3, v[8:9]
	flat_load_dword v11, v[36:37]
	flat_store_dwordx2 v[36:37], v[54:55] offset:8
                                        ; implicit-def: $vgpr54_vgpr55
	s_waitcnt vmcnt(0) lgkmcnt(1)
	v_cmpx_eq_u32_e32 1, v11
	s_cbranch_execz .LBB4_75
; %bb.74:                               ;   in Loop: Header=BB4_57 Depth=2
	flat_load_dword v36, v[36:37] offset:4 glc dlc
	s_xor_b32 s22, exec_lo, -1
	s_waitcnt vmcnt(0) lgkmcnt(0)
	v_ashrrev_i32_e32 v37, 31, v36
	v_lshrrev_b64 v[54:55], 3, v[36:37]
.LBB4_75:                               ;   in Loop: Header=BB4_57 Depth=2
	s_or_b32 exec_lo, exec_lo, s24
	s_and_b32 s22, s22, exec_lo
                                        ; implicit-def: $vgpr36_vgpr37
	s_andn2_saveexec_b32 s16, s16
	s_cbranch_execnz .LBB4_94
.LBB4_76:                               ;   in Loop: Header=BB4_57 Depth=2
	s_or_b32 exec_lo, exec_lo, s16
	s_and_saveexec_b32 s16, s22
.LBB4_77:                               ;   in Loop: Header=BB4_57 Depth=2
	v_mul_lo_u32 v9, v3, v86
	v_mul_lo_u32 v11, v2, v30
	v_mad_u64_u32 v[54:55], null, v2, v86, 0
	v_add3_u32 v55, v55, v11, v9
.LBB4_78:                               ;   in Loop: Header=BB4_57 Depth=2
	s_or_b32 exec_lo, exec_lo, s16
	v_lshlrev_b64 v[36:37], 3, v[54:55]
	v_and_b32_e32 v2, 0x2000, v85
	s_mov_b32 s16, exec_lo
	v_add_co_u32 v36, vcc_lo, v22, v36
	v_add_co_ci_u32_e64 v37, null, v23, v37, vcc_lo
	ds_write_b64 v0, v[36:37] offset:784
	v_cmpx_ne_u32_e32 0, v2
	s_cbranch_execz .LBB4_80
; %bb.79:                               ;   in Loop: Header=BB4_57 Depth=2
	ds_read_b64 v[36:37], v0 offset:872
	s_waitcnt lgkmcnt(0)
	v_add_co_u32 v36, vcc_lo, v36, 1
	v_add_co_ci_u32_e64 v37, null, 0, v37, vcc_lo
	ds_write_b64 v0, v[36:37] offset:872
.LBB4_80:                               ;   in Loop: Header=BB4_57 Depth=2
	s_or_b32 exec_lo, exec_lo, s16
	v_mov_b32_e32 v36, v52
	v_mov_b32_e32 v37, v53
.LBB4_81:                               ;   in Loop: Header=BB4_57 Depth=2
	s_or_b32 exec_lo, exec_lo, s17
	s_and_saveexec_b32 s16, s6
	s_cbranch_execz .LBB4_102
; %bb.82:                               ;   in Loop: Header=BB4_57 Depth=2
	s_and_saveexec_b32 s17, s42
	s_xor_b32 s17, exec_lo, s17
	s_cbranch_execz .LBB4_99
; %bb.83:                               ;   in Loop: Header=BB4_57 Depth=2
	s_and_saveexec_b32 s22, s11
	s_cbranch_execz .LBB4_98
; %bb.84:                               ;   in Loop: Header=BB4_57 Depth=2
	s_mov_b32 s27, exec_lo
	s_mov_b32 s24, exec_lo
	v_mbcnt_lo_u32_b32 v2, s27, 0
	s_waitcnt vmcnt(0) lgkmcnt(0)
	s_waitcnt_vscnt null, 0x0
	buffer_gl1_inv
	buffer_gl0_inv
	v_cmpx_eq_u32_e32 0, v2
	s_cbranch_execz .LBB4_86
; %bb.85:                               ;   in Loop: Header=BB4_57 Depth=2
	s_bcnt1_i32_b32 s27, s27
	v_mov_b32_e32 v2, s27
	ds_add_u64 v0, v[2:3]
	s_trap 2
.LBB4_86:                               ;   in Loop: Header=BB4_57 Depth=2
	s_or_b32 exec_lo, exec_lo, s24
	s_trap 2
	ds_read_b64 v[52:53], v0
	s_waitcnt lgkmcnt(0)
	buffer_gl0_inv
	v_add_co_u32 v12, vcc_lo, v12, v87
	v_add_co_ci_u32_e64 v13, null, 0, v13, vcc_lo
	s_mov_b32 s24, exec_lo
	v_cmpx_lt_u64_e64 v[52:53], v[12:13]
	s_cbranch_execz .LBB4_97
; %bb.87:                               ;   in Loop: Header=BB4_57 Depth=2
	s_mov_b32 s27, 0
	s_mov_b32 s75, 0
                                        ; implicit-def: $sgpr73
                                        ; implicit-def: $sgpr74
	s_inst_prefetch 0x1
	s_branch .LBB4_89
	.p2align	6
.LBB4_88:                               ;   in Loop: Header=BB4_89 Depth=3
	s_or_b32 exec_lo, exec_lo, s77
	s_and_b32 s76, exec_lo, s78
	s_or_b32 s27, s76, s27
	s_andn2_b32 s73, s73, exec_lo
	s_and_b32 s76, s74, exec_lo
	s_or_b32 s73, s73, s76
	s_andn2_b32 exec_lo, exec_lo, s27
	s_cbranch_execz .LBB4_95
.LBB4_89:                               ;   Parent Loop BB4_47 Depth=1
                                        ;     Parent Loop BB4_57 Depth=2
                                        ; =>    This Inner Loop Header: Depth=3
	s_add_i32 s75, s75, 1
	s_cmpk_lg_i32 s75, 0x2710
	s_cselect_b32 s76, -1, 0
	s_and_b32 vcc_lo, exec_lo, s76
	s_cbranch_vccz .LBB4_91
; %bb.90:                               ;   in Loop: Header=BB4_89 Depth=3
	s_mov_b32 s78, -1
	s_or_b32 s74, s74, exec_lo
	s_and_saveexec_b32 s77, s76
	s_cbranch_execz .LBB4_88
	s_branch .LBB4_92
	.p2align	6
.LBB4_91:                               ;   in Loop: Header=BB4_89 Depth=3
	s_trap 2
	ds_read_b64 v[52:53], v0
	s_andn2_b32 s76, s76, exec_lo
	s_mov_b32 s75, 0
	s_waitcnt lgkmcnt(0)
	flat_load_dword v2, v[52:53] glc dlc
	s_waitcnt vmcnt(0) lgkmcnt(0)
	buffer_gl1_inv
	buffer_gl0_inv
	v_cmp_eq_u32_e32 vcc_lo, 0, v2
	s_and_b32 s77, vcc_lo, exec_lo
	s_or_b32 s76, s76, s77
	s_mov_b32 s78, -1
	s_or_b32 s74, s74, exec_lo
	s_and_saveexec_b32 s77, s76
	s_cbranch_execz .LBB4_88
.LBB4_92:                               ;   in Loop: Header=BB4_89 Depth=3
	s_sleep 1
	s_trap 2
	ds_read_b64 v[52:53], v0
	s_waitcnt lgkmcnt(0)
	buffer_gl0_inv
	s_andn2_b32 s74, s74, exec_lo
	v_cmp_ge_u64_e32 vcc_lo, v[52:53], v[12:13]
	s_orn2_b32 s78, vcc_lo, exec_lo
	s_branch .LBB4_88
.LBB4_93:                               ;   in Loop: Header=BB4_57 Depth=2
	s_andn2_saveexec_b32 s16, s16
	s_cbranch_execz .LBB4_76
.LBB4_94:                               ;   in Loop: Header=BB4_57 Depth=2
	v_and_b32_e32 v2, 7, v36
	s_or_b32 s22, s22, exec_lo
	s_or_b32 exec_lo, exec_lo, s16
	s_and_saveexec_b32 s16, s22
	s_cbranch_execnz .LBB4_77
	s_branch .LBB4_78
.LBB4_95:                               ;   in Loop: Header=BB4_57 Depth=2
	s_inst_prefetch 0x2
	s_or_b32 exec_lo, exec_lo, s27
	s_and_saveexec_b32 s27, s73
	s_xor_b32 s27, exec_lo, s27
	s_cbranch_execz .LBB4_97
; %bb.96:                               ;   in Loop: Header=BB4_57 Depth=2
	ds_write_b32 v0, v98
	s_trap 2
.LBB4_97:                               ;   in Loop: Header=BB4_57 Depth=2
	s_or_b32 exec_lo, exec_lo, s24
	;;#ASMSTART
	s_wakeup
	;;#ASMEND
.LBB4_98:                               ;   in Loop: Header=BB4_57 Depth=2
	s_or_b32 exec_lo, exec_lo, s22
.LBB4_99:                               ;   in Loop: Header=BB4_57 Depth=2
	s_andn2_saveexec_b32 s17, s17
	s_cbranch_execz .LBB4_101
; %bb.100:                              ;   in Loop: Header=BB4_57 Depth=2
	s_waitcnt vmcnt(0) lgkmcnt(0)
	s_waitcnt_vscnt null, 0x0
	buffer_gl1_inv
	buffer_gl0_inv
	s_barrier
.LBB4_101:                              ;   in Loop: Header=BB4_57 Depth=2
	s_or_b32 exec_lo, exec_lo, s17
.LBB4_102:                              ;   in Loop: Header=BB4_57 Depth=2
	s_or_b32 exec_lo, exec_lo, s16
	s_trap 2
	ds_read_b32 v9, v0
	v_and_b32_e32 v2, 0x4000, v85
	s_xor_b32 s16, s5, -1
	v_cmp_ne_u32_e32 vcc_lo, 0, v2
	s_and_b32 s17, s16, vcc_lo
	s_and_saveexec_b32 s16, s17
	s_cbranch_execz .LBB4_121
; %bb.103:                              ;   in Loop: Header=BB4_57 Depth=2
	s_and_saveexec_b32 s17, s42
	s_xor_b32 s17, exec_lo, s17
	s_cbranch_execz .LBB4_118
; %bb.104:                              ;   in Loop: Header=BB4_57 Depth=2
	s_and_saveexec_b32 s22, s11
	s_cbranch_execz .LBB4_117
; %bb.105:                              ;   in Loop: Header=BB4_57 Depth=2
	s_mov_b32 s27, exec_lo
	s_mov_b32 s24, exec_lo
	v_mbcnt_lo_u32_b32 v2, s27, 0
	s_waitcnt vmcnt(0) lgkmcnt(0)
	s_waitcnt_vscnt null, 0x0
	buffer_gl1_inv
	buffer_gl0_inv
	v_cmpx_eq_u32_e32 0, v2
	s_cbranch_execz .LBB4_107
; %bb.106:                              ;   in Loop: Header=BB4_57 Depth=2
	s_bcnt1_i32_b32 s27, s27
	v_mov_b32_e32 v2, s27
	ds_add_u64 v0, v[2:3]
	s_trap 2
.LBB4_107:                              ;   in Loop: Header=BB4_57 Depth=2
	s_or_b32 exec_lo, exec_lo, s24
	s_trap 2
	ds_read_b64 v[52:53], v0
	s_waitcnt lgkmcnt(0)
	buffer_gl0_inv
	v_add_co_u32 v12, vcc_lo, v12, v87
	v_add_co_ci_u32_e64 v13, null, 0, v13, vcc_lo
	s_mov_b32 s24, exec_lo
	v_cmpx_lt_u64_e64 v[52:53], v[12:13]
	s_cbranch_execz .LBB4_116
; %bb.108:                              ;   in Loop: Header=BB4_57 Depth=2
	s_mov_b32 s27, 0
	s_mov_b32 s75, 0
                                        ; implicit-def: $sgpr73
                                        ; implicit-def: $sgpr74
	s_inst_prefetch 0x1
	s_branch .LBB4_110
	.p2align	6
.LBB4_109:                              ;   in Loop: Header=BB4_110 Depth=3
	s_or_b32 exec_lo, exec_lo, s77
	s_and_b32 s76, exec_lo, s78
	s_or_b32 s27, s76, s27
	s_andn2_b32 s73, s73, exec_lo
	s_and_b32 s76, s74, exec_lo
	s_or_b32 s73, s73, s76
	s_andn2_b32 exec_lo, exec_lo, s27
	s_cbranch_execz .LBB4_114
.LBB4_110:                              ;   Parent Loop BB4_47 Depth=1
                                        ;     Parent Loop BB4_57 Depth=2
                                        ; =>    This Inner Loop Header: Depth=3
	s_add_i32 s75, s75, 1
	s_cmpk_lg_i32 s75, 0x2710
	s_cselect_b32 s76, -1, 0
	s_and_b32 vcc_lo, exec_lo, s76
	s_cbranch_vccz .LBB4_112
; %bb.111:                              ;   in Loop: Header=BB4_110 Depth=3
	s_mov_b32 s78, -1
	s_or_b32 s74, s74, exec_lo
	s_and_saveexec_b32 s77, s76
	s_cbranch_execz .LBB4_109
	s_branch .LBB4_113
	.p2align	6
.LBB4_112:                              ;   in Loop: Header=BB4_110 Depth=3
	s_trap 2
	ds_read_b64 v[52:53], v0
	s_andn2_b32 s76, s76, exec_lo
	s_mov_b32 s75, 0
	s_waitcnt lgkmcnt(0)
	flat_load_dword v2, v[52:53] glc dlc
	s_waitcnt vmcnt(0) lgkmcnt(0)
	buffer_gl1_inv
	buffer_gl0_inv
	v_cmp_eq_u32_e32 vcc_lo, 0, v2
	s_and_b32 s77, vcc_lo, exec_lo
	s_or_b32 s76, s76, s77
	s_mov_b32 s78, -1
	s_or_b32 s74, s74, exec_lo
	s_and_saveexec_b32 s77, s76
	s_cbranch_execz .LBB4_109
.LBB4_113:                              ;   in Loop: Header=BB4_110 Depth=3
	s_sleep 1
	s_trap 2
	ds_read_b64 v[52:53], v0
	s_waitcnt lgkmcnt(0)
	buffer_gl0_inv
	s_andn2_b32 s74, s74, exec_lo
	v_cmp_ge_u64_e32 vcc_lo, v[52:53], v[12:13]
	s_orn2_b32 s78, vcc_lo, exec_lo
	s_branch .LBB4_109
.LBB4_114:                              ;   in Loop: Header=BB4_57 Depth=2
	s_inst_prefetch 0x2
	s_or_b32 exec_lo, exec_lo, s27
	s_and_saveexec_b32 s27, s73
	s_xor_b32 s27, exec_lo, s27
	s_cbranch_execz .LBB4_116
; %bb.115:                              ;   in Loop: Header=BB4_57 Depth=2
	ds_write_b32 v0, v98
	s_trap 2
.LBB4_116:                              ;   in Loop: Header=BB4_57 Depth=2
	s_or_b32 exec_lo, exec_lo, s24
	;;#ASMSTART
	s_wakeup
	;;#ASMEND
.LBB4_117:                              ;   in Loop: Header=BB4_57 Depth=2
	s_or_b32 exec_lo, exec_lo, s22
.LBB4_118:                              ;   in Loop: Header=BB4_57 Depth=2
	s_andn2_saveexec_b32 s17, s17
	s_cbranch_execz .LBB4_120
; %bb.119:                              ;   in Loop: Header=BB4_57 Depth=2
	s_waitcnt vmcnt(0) lgkmcnt(0)
	s_waitcnt_vscnt null, 0x0
	buffer_gl1_inv
	buffer_gl0_inv
	s_barrier
.LBB4_120:                              ;   in Loop: Header=BB4_57 Depth=2
	s_or_b32 exec_lo, exec_lo, s17
.LBB4_121:                              ;   in Loop: Header=BB4_57 Depth=2
	s_or_b32 exec_lo, exec_lo, s16
	s_trap 2
	ds_read_b64 v[52:53], v0
	s_waitcnt lgkmcnt(0)
	v_cmp_eq_u64_e32 vcc_lo, 0, v[52:53]
	s_cbranch_vccnz .LBB4_129
; %bb.122:                              ;   in Loop: Header=BB4_57 Depth=2
	s_trap 2
	ds_read_b64 v[54:55], v0
	s_waitcnt lgkmcnt(0)
	v_cmp_eq_u64_e32 vcc_lo, 0, v[54:55]
	s_cbranch_vccnz .LBB4_129
; %bb.123:                              ;   in Loop: Header=BB4_57 Depth=2
	s_mov_b32 s16, -1
	s_and_saveexec_b32 s17, s12
	s_cbranch_execz .LBB4_125
; %bb.124:                              ;   in Loop: Header=BB4_57 Depth=2
	ds_read_b32 v2, v0 offset:720
	s_waitcnt lgkmcnt(0)
	v_and_b32_e32 v2, 15, v2
	v_cmp_eq_u32_e32 vcc_lo, 0, v2
	s_orn2_b32 s16, vcc_lo, exec_lo
.LBB4_125:                              ;   in Loop: Header=BB4_57 Depth=2
	s_or_b32 exec_lo, exec_lo, s17
	s_and_saveexec_b32 s17, s13
	s_cbranch_execz .LBB4_127
; %bb.126:                              ;   in Loop: Header=BB4_57 Depth=2
	ds_read_b32 v2, v0 offset:784
	s_waitcnt lgkmcnt(0)
	v_and_b32_e32 v2, 15, v2
	v_cmp_eq_u32_e32 vcc_lo, 0, v2
	s_and_b32 s22, s16, vcc_lo
	s_andn2_b32 s16, s16, exec_lo
	s_and_b32 s22, s22, exec_lo
	s_or_b32 s16, s16, s22
.LBB4_127:                              ;   in Loop: Header=BB4_57 Depth=2
	s_or_b32 exec_lo, exec_lo, s17
	v_cmp_eq_u32_e32 vcc_lo, 0, v9
	s_xor_b32 s16, s16, -1
	v_cndmask_b32_e64 v11, 0, 1, s16
	s_mov_b32 s16, -1
	v_cndmask_b32_e32 v2, 0, v8, vcc_lo
	v_cmp_ne_u32_e32 vcc_lo, 0, v11
	v_mov_b32_e32 v11, 0
	v_lshlrev_b32_e32 v9, 3, v2
	s_cbranch_vccz .LBB4_134
; %bb.128:                              ;   in Loop: Header=BB4_57 Depth=2
	v_mov_b32_e32 v64, v0
	s_and_saveexec_b32 s17, s16
	s_cbranch_execnz .LBB4_145
	s_branch .LBB4_153
.LBB4_129:                              ;   in Loop: Header=BB4_57 Depth=2
	s_mov_b32 s16, 0
	s_and_saveexec_b32 s17, s6
	s_cbranch_execnz .LBB4_154
.LBB4_130:                              ;   in Loop: Header=BB4_57 Depth=2
	s_or_b32 exec_lo, exec_lo, s17
                                        ; implicit-def: $vgpr2
	s_and_saveexec_b32 s17, s15
	s_xor_b32 s17, exec_lo, s17
	s_cbranch_execz .LBB4_172
.LBB4_131:                              ;   in Loop: Header=BB4_57 Depth=2
	v_and_b32_e32 v2, 16, v85
	v_cmp_ne_u32_e32 vcc_lo, 0, v2
	v_and_b32_e32 v2, 16, v85
	s_and_b32 s22, vcc_lo, s16
	s_and_saveexec_b32 s16, s22
	s_cbranch_execz .LBB4_133
; %bb.132:                              ;   in Loop: Header=BB4_57 Depth=2
	v_mov_b32_e32 v2, 1
	s_waitcnt vmcnt(0) lgkmcnt(0)
	s_waitcnt_vscnt null, 0x0
	buffer_gl1_inv
	buffer_gl0_inv
.LBB4_133:                              ;   in Loop: Header=BB4_57 Depth=2
	s_or_b32 exec_lo, exec_lo, s16
	s_andn2_saveexec_b32 s16, s17
	s_cbranch_execz .LBB4_191
	s_branch .LBB4_173
.LBB4_134:                              ;   in Loop: Header=BB4_57 Depth=2
	v_ashrrev_i32_e32 v11, 31, v9
	s_mov_b32 s17, exec_lo
	v_lshrrev_b32_e32 v11, 21, v11
	v_add_nc_u32_e32 v11, v9, v11
	v_ashrrev_i32_e32 v11, 11, v11
	v_sub_nc_u32_e32 v69, v11, v97
	v_cmpx_lt_i32_e32 0, v69
	s_cbranch_execz .LBB4_138
; %bb.135:                              ;   in Loop: Header=BB4_57 Depth=2
	v_mov_b32_e32 v65, v55
	v_mov_b32_e32 v67, v53
	;; [unrolled: 1-line block ×4, first 2 shown]
	s_mov_b32 s22, 0
	s_inst_prefetch 0x1
	.p2align	6
.LBB4_136:                              ;   Parent Loop BB4_47 Depth=1
                                        ;     Parent Loop BB4_57 Depth=2
                                        ; =>    This Inner Loop Header: Depth=3
	v_add_co_u32 v70, vcc_lo, v116, v66
	v_add_co_ci_u32_e64 v71, null, 0, v67, vcc_lo
	v_sub_nc_u32_e32 v69, v69, v87
	s_clause 0x3
	global_load_dwordx4 v[80:83], v[70:71], off slc
	global_load_dwordx4 v[43:46], v[70:71], off offset:512 slc
	global_load_dwordx4 v[56:59], v[70:71], off offset:1024 slc
	;; [unrolled: 1-line block ×3, first 2 shown]
	v_add_co_u32 v70, vcc_lo, v116, v64
	v_add_co_ci_u32_e64 v71, null, 0, v65, vcc_lo
	v_add_co_u32 v66, vcc_lo, v66, v101
	v_add_co_ci_u32_e64 v67, null, 0, v67, vcc_lo
	v_add_co_u32 v64, vcc_lo, v64, v101
	v_cmp_gt_i32_e64 s16, 1, v69
	v_add_co_ci_u32_e64 v65, null, 0, v65, vcc_lo
	s_waitcnt vmcnt(3)
	global_store_dwordx4 v[70:71], v[80:83], off glc slc
	s_waitcnt vmcnt(2)
	global_store_dwordx4 v[70:71], v[43:46], off offset:512 glc slc
	s_waitcnt vmcnt(1)
	global_store_dwordx4 v[70:71], v[56:59], off offset:1024 glc slc
	;; [unrolled: 2-line block ×3, first 2 shown]
	s_or_b32 s22, s16, s22
	s_andn2_b32 exec_lo, exec_lo, s22
	s_cbranch_execnz .LBB4_136
; %bb.137:                              ;   in Loop: Header=BB4_57 Depth=2
	s_inst_prefetch 0x2
	s_or_b32 exec_lo, exec_lo, s22
.LBB4_138:                              ;   in Loop: Header=BB4_57 Depth=2
	s_or_b32 exec_lo, exec_lo, s17
	v_lshlrev_b32_e32 v65, 11, v11
	v_mov_b32_e32 v11, 0
	s_mov_b32 s16, 0
	s_mov_b32 s22, exec_lo
                                        ; implicit-def: $vgpr64
	v_cmpx_ne_u32_e64 v9, v65
	s_cbranch_execz .LBB4_144
; %bb.139:                              ;   in Loop: Header=BB4_57 Depth=2
	v_lshlrev_b32_e32 v11, 5, v69
	v_sub_nc_u32_e32 v67, v9, v65
	s_mov_b32 s24, exec_lo
	v_sub_nc_u32_e32 v11, v96, v11
	v_ashrrev_i32_e32 v66, 31, v67
	v_ashrrev_i32_e32 v64, 31, v11
	v_lshrrev_b32_e32 v64, 27, v64
	v_add_nc_u32_e32 v69, v11, v64
	v_lshrrev_b32_e32 v64, 23, v66
	v_and_b32_e32 v66, 0xffffffe0, v69
	v_add_nc_u32_e32 v70, v67, v64
	v_ashrrev_i32_e32 v71, 5, v69
	v_sub_nc_u32_e32 v64, v11, v66
	v_and_b32_e32 v11, 0xfffffe00, v70
	v_ashrrev_i32_e32 v80, 9, v70
	v_lshlrev_b32_e32 v69, 4, v64
	v_sub_nc_u32_e32 v66, v67, v11
	v_lshl_add_u32 v70, v71, 9, v69
	v_cmp_lt_i32_e32 vcc_lo, 15, v66
	v_sub_nc_u32_e32 v69, v67, v70
	v_add_co_ci_u32_e64 v80, null, 0, v80, vcc_lo
	v_sub_nc_u32_e32 v67, v80, v71
	v_cmpx_lt_i32_e32 15, v69
	s_cbranch_execz .LBB4_143
; %bb.140:                              ;   in Loop: Header=BB4_57 Depth=2
	v_add_nc_u32_e32 v70, v70, v65
	s_mov_b32 s27, 0
	v_ashrrev_i32_e32 v71, 31, v70
	.p2align	6
.LBB4_141:                              ;   Parent Loop BB4_47 Depth=1
                                        ;     Parent Loop BB4_57 Depth=2
                                        ; =>    This Inner Loop Header: Depth=3
	v_add_co_u32 v80, s16, v52, v70
	v_add_co_ci_u32_e64 v81, null, v53, v71, s16
	v_sub_nc_u32_e32 v69, v69, v102
	v_add_co_u32 v43, s16, v54, v70
	global_load_dwordx4 v[80:83], v[80:81], off slc
	v_add_co_ci_u32_e64 v44, null, v55, v71, s16
	v_cmp_gt_i32_e64 s16, 16, v69
	v_add_co_u32 v70, s17, v70, v102
	v_sub_nc_u32_e32 v67, v67, v87
	v_add_co_ci_u32_e64 v71, null, 0, v71, s17
	s_or_b32 s27, s16, s27
	s_waitcnt vmcnt(0)
	global_store_dwordx4 v[43:44], v[80:83], off glc slc
	s_andn2_b32 exec_lo, exec_lo, s27
	s_cbranch_execnz .LBB4_141
; %bb.142:                              ;   in Loop: Header=BB4_57 Depth=2
	s_or_b32 exec_lo, exec_lo, s27
.LBB4_143:                              ;   in Loop: Header=BB4_57 Depth=2
	s_or_b32 exec_lo, exec_lo, s24
	v_and_b32_e32 v9, 8, v9
	v_cmp_lt_i32_e64 s16, 0, v67
	v_sub_nc_u32_e32 v69, v66, v9
	v_cndmask_b32_e64 v70, 0, v87, s16
	v_cndmask_b32_e32 v9, v66, v9, vcc_lo
	v_cndmask_b32_e32 v66, 0, v69, vcc_lo
	v_sub_nc_u32_e32 v67, v70, v67
	v_cmp_ne_u32_e32 vcc_lo, 0, v9
	v_add3_u32 v11, v11, v65, v66
	v_lshl_add_u32 v64, v67, 5, v64
	s_and_b32 s16, vcc_lo, exec_lo
.LBB4_144:                              ;   in Loop: Header=BB4_57 Depth=2
	s_or_b32 exec_lo, exec_lo, s22
	s_and_saveexec_b32 s17, s16
	s_cbranch_execz .LBB4_153
.LBB4_145:                              ;   in Loop: Header=BB4_57 Depth=2
	v_ashrrev_i32_e32 v65, 31, v64
	v_ashrrev_i32_e32 v66, 31, v9
	s_mov_b32 s22, exec_lo
	v_lshrrev_b32_e32 v65, 27, v65
	v_lshrrev_b32_e32 v66, 23, v66
	v_add_nc_u32_e32 v69, v64, v65
	v_add_nc_u32_e32 v66, v9, v66
	v_ashrrev_i32_e32 v65, 5, v69
	v_ashrrev_i32_e32 v67, 9, v66
	v_sub_nc_u32_e32 v66, v67, v65
	v_cmpx_lt_i32_e32 0, v66
	s_cbranch_execz .LBB4_149
; %bb.146:                              ;   in Loop: Header=BB4_57 Depth=2
	v_and_b32_e32 v69, 0x1fffffe0, v69
	v_lshlrev_b32_e32 v70, 9, v65
	s_mov_b32 s24, 0
	v_sub_nc_u32_e32 v69, v64, v69
	v_lshlrev_b32_e32 v69, 3, v69
	v_add3_u32 v69, v69, v11, v70
	v_ashrrev_i32_e32 v70, 31, v69
	.p2align	6
.LBB4_147:                              ;   Parent Loop BB4_47 Depth=1
                                        ;     Parent Loop BB4_57 Depth=2
                                        ; =>    This Inner Loop Header: Depth=3
	v_add_co_u32 v80, vcc_lo, v52, v69
	v_add_co_ci_u32_e64 v81, null, v53, v70, vcc_lo
	v_sub_nc_u32_e32 v66, v66, v87
	v_add_co_u32 v43, vcc_lo, v54, v69
	s_clause 0x1
	flat_load_dwordx2 v[82:83], v[80:81] slc
	flat_load_dwordx2 v[80:81], v[80:81] offset:256 slc
	v_add_co_ci_u32_e64 v44, null, v55, v70, vcc_lo
	v_cmp_gt_i32_e32 vcc_lo, 1, v66
	v_add_co_u32 v69, s16, v69, v102
	v_add_co_ci_u32_e64 v70, null, 0, v70, s16
	s_or_b32 s24, vcc_lo, s24
	s_waitcnt vmcnt(1) lgkmcnt(1)
	flat_store_dwordx2 v[43:44], v[82:83] glc slc
	s_waitcnt vmcnt(0) lgkmcnt(1)
	flat_store_dwordx2 v[43:44], v[80:81] offset:256 glc slc
	s_andn2_b32 exec_lo, exec_lo, s24
	s_cbranch_execnz .LBB4_147
; %bb.148:                              ;   in Loop: Header=BB4_57 Depth=2
	s_or_b32 exec_lo, exec_lo, s24
.LBB4_149:                              ;   in Loop: Header=BB4_57 Depth=2
	s_or_b32 exec_lo, exec_lo, s22
	v_lshlrev_b32_e32 v67, 9, v67
	v_cmp_ne_u32_e32 vcc_lo, v9, v67
	s_and_b32 exec_lo, exec_lo, vcc_lo
	s_cbranch_execz .LBB4_153
; %bb.150:                              ;   in Loop: Header=BB4_57 Depth=2
	v_lshlrev_b32_e32 v65, 5, v65
	v_sub_nc_u32_e32 v64, v64, v65
	v_lshlrev_b32_e32 v65, 5, v66
	v_sub_nc_u32_e32 v64, v64, v65
	v_ashrrev_i32_e32 v65, 31, v64
	v_lshrrev_b32_e32 v65, 27, v65
	v_add_nc_u32_e32 v65, v64, v65
	v_and_b32_e32 v66, 0x1fffffe0, v65
	v_lshlrev_b32_e32 v65, 3, v65
	v_sub_nc_u32_e32 v64, v64, v66
	v_and_b32_e32 v65, 0xffffff00, v65
	v_lshlrev_b32_e32 v64, 3, v64
	v_add3_u32 v64, v65, v64, v67
	v_sub_nc_u32_e32 v9, v9, v64
	v_cmp_lt_i32_e32 vcc_lo, 7, v9
	s_and_b32 exec_lo, exec_lo, vcc_lo
	s_cbranch_execz .LBB4_153
; %bb.151:                              ;   in Loop: Header=BB4_57 Depth=2
	v_add_nc_u32_e32 v11, v64, v11
	s_mov_b32 s22, 0
	v_ashrrev_i32_e32 v64, 31, v11
	.p2align	6
.LBB4_152:                              ;   Parent Loop BB4_47 Depth=1
                                        ;     Parent Loop BB4_57 Depth=2
                                        ; =>    This Inner Loop Header: Depth=3
	v_add_co_u32 v65, vcc_lo, v52, v11
	v_add_co_ci_u32_e64 v66, null, v53, v64, vcc_lo
	v_sub_nc_u32_e32 v9, v9, v103
	v_add_co_u32 v69, vcc_lo, v54, v11
	flat_load_dwordx2 v[65:66], v[65:66] slc
	v_add_co_ci_u32_e64 v70, null, v55, v64, vcc_lo
	v_cmp_gt_i32_e32 vcc_lo, 8, v9
	v_add_co_u32 v11, s16, v11, v103
	v_add_co_ci_u32_e64 v64, null, 0, v64, s16
	s_or_b32 s22, vcc_lo, s22
	s_waitcnt vmcnt(0) lgkmcnt(0)
	flat_store_dwordx2 v[69:70], v[65:66] glc slc
	s_andn2_b32 exec_lo, exec_lo, s22
	s_cbranch_execnz .LBB4_152
.LBB4_153:                              ;   in Loop: Header=BB4_57 Depth=2
	s_or_b32 exec_lo, exec_lo, s17
	v_cmp_lt_i32_e64 s16, 0, v2
	s_and_saveexec_b32 s17, s6
	s_cbranch_execz .LBB4_130
.LBB4_154:                              ;   in Loop: Header=BB4_57 Depth=2
	s_and_saveexec_b32 s22, s42
	s_xor_b32 s22, exec_lo, s22
	s_cbranch_execz .LBB4_169
; %bb.155:                              ;   in Loop: Header=BB4_57 Depth=2
	s_and_saveexec_b32 s24, s11
	s_cbranch_execz .LBB4_168
; %bb.156:                              ;   in Loop: Header=BB4_57 Depth=2
	s_mov_b32 s73, exec_lo
	s_mov_b32 s27, exec_lo
	v_mbcnt_lo_u32_b32 v2, s73, 0
	s_waitcnt vmcnt(0) lgkmcnt(0)
	s_waitcnt_vscnt null, 0x0
	buffer_gl1_inv
	buffer_gl0_inv
	v_cmpx_eq_u32_e32 0, v2
	s_cbranch_execz .LBB4_158
; %bb.157:                              ;   in Loop: Header=BB4_57 Depth=2
	s_bcnt1_i32_b32 s73, s73
	v_mov_b32_e32 v2, s73
	ds_add_u64 v0, v[2:3]
	s_trap 2
.LBB4_158:                              ;   in Loop: Header=BB4_57 Depth=2
	s_or_b32 exec_lo, exec_lo, s27
	s_trap 2
	ds_read_b64 v[52:53], v0
	s_waitcnt lgkmcnt(0)
	buffer_gl0_inv
	v_add_co_u32 v12, vcc_lo, v12, v87
	v_add_co_ci_u32_e64 v13, null, 0, v13, vcc_lo
	s_mov_b32 s27, exec_lo
	v_cmpx_lt_u64_e64 v[52:53], v[12:13]
	s_cbranch_execz .LBB4_167
; %bb.159:                              ;   in Loop: Header=BB4_57 Depth=2
	s_mov_b32 s73, 0
	s_mov_b32 s76, 0
                                        ; implicit-def: $sgpr74
                                        ; implicit-def: $sgpr75
	s_inst_prefetch 0x1
	s_branch .LBB4_161
	.p2align	6
.LBB4_160:                              ;   in Loop: Header=BB4_161 Depth=3
	s_or_b32 exec_lo, exec_lo, s78
	s_and_b32 s77, exec_lo, s79
	s_or_b32 s73, s77, s73
	s_andn2_b32 s74, s74, exec_lo
	s_and_b32 s77, s75, exec_lo
	s_or_b32 s74, s74, s77
	s_andn2_b32 exec_lo, exec_lo, s73
	s_cbranch_execz .LBB4_165
.LBB4_161:                              ;   Parent Loop BB4_47 Depth=1
                                        ;     Parent Loop BB4_57 Depth=2
                                        ; =>    This Inner Loop Header: Depth=3
	s_add_i32 s76, s76, 1
	s_cmpk_lg_i32 s76, 0x2710
	s_cselect_b32 s77, -1, 0
	s_and_b32 vcc_lo, exec_lo, s77
	s_cbranch_vccz .LBB4_163
; %bb.162:                              ;   in Loop: Header=BB4_161 Depth=3
	s_mov_b32 s79, -1
	s_or_b32 s75, s75, exec_lo
	s_and_saveexec_b32 s78, s77
	s_cbranch_execz .LBB4_160
	s_branch .LBB4_164
	.p2align	6
.LBB4_163:                              ;   in Loop: Header=BB4_161 Depth=3
	s_trap 2
	ds_read_b64 v[52:53], v0
	s_andn2_b32 s77, s77, exec_lo
	s_mov_b32 s76, 0
	s_waitcnt lgkmcnt(0)
	flat_load_dword v2, v[52:53] glc dlc
	s_waitcnt vmcnt(0) lgkmcnt(0)
	buffer_gl1_inv
	buffer_gl0_inv
	v_cmp_eq_u32_e32 vcc_lo, 0, v2
	s_and_b32 s78, vcc_lo, exec_lo
	s_or_b32 s77, s77, s78
	s_mov_b32 s79, -1
	s_or_b32 s75, s75, exec_lo
	s_and_saveexec_b32 s78, s77
	s_cbranch_execz .LBB4_160
.LBB4_164:                              ;   in Loop: Header=BB4_161 Depth=3
	s_sleep 1
	s_trap 2
	ds_read_b64 v[52:53], v0
	s_waitcnt lgkmcnt(0)
	buffer_gl0_inv
	s_andn2_b32 s75, s75, exec_lo
	v_cmp_ge_u64_e32 vcc_lo, v[52:53], v[12:13]
	s_orn2_b32 s79, vcc_lo, exec_lo
	s_branch .LBB4_160
.LBB4_165:                              ;   in Loop: Header=BB4_57 Depth=2
	s_inst_prefetch 0x2
	s_or_b32 exec_lo, exec_lo, s73
	s_and_saveexec_b32 s73, s74
	s_xor_b32 s73, exec_lo, s73
	s_cbranch_execz .LBB4_167
; %bb.166:                              ;   in Loop: Header=BB4_57 Depth=2
	ds_write_b32 v0, v98
	s_trap 2
.LBB4_167:                              ;   in Loop: Header=BB4_57 Depth=2
	s_or_b32 exec_lo, exec_lo, s27
	;;#ASMSTART
	s_wakeup
	;;#ASMEND
.LBB4_168:                              ;   in Loop: Header=BB4_57 Depth=2
	s_or_b32 exec_lo, exec_lo, s24
.LBB4_169:                              ;   in Loop: Header=BB4_57 Depth=2
	s_andn2_saveexec_b32 s22, s22
	s_cbranch_execz .LBB4_171
; %bb.170:                              ;   in Loop: Header=BB4_57 Depth=2
	s_waitcnt vmcnt(0) lgkmcnt(0)
	s_waitcnt_vscnt null, 0x0
	buffer_gl1_inv
	buffer_gl0_inv
	s_barrier
.LBB4_171:                              ;   in Loop: Header=BB4_57 Depth=2
	s_or_b32 exec_lo, exec_lo, s22
	s_or_b32 exec_lo, exec_lo, s17
                                        ; implicit-def: $vgpr2
	s_and_saveexec_b32 s17, s15
	s_xor_b32 s17, exec_lo, s17
	s_cbranch_execnz .LBB4_131
.LBB4_172:                              ;   in Loop: Header=BB4_57 Depth=2
	s_andn2_saveexec_b32 s16, s17
	s_cbranch_execz .LBB4_191
.LBB4_173:                              ;   in Loop: Header=BB4_57 Depth=2
	s_and_saveexec_b32 s17, s42
	s_xor_b32 s17, exec_lo, s17
	s_cbranch_execz .LBB4_188
; %bb.174:                              ;   in Loop: Header=BB4_57 Depth=2
	s_and_saveexec_b32 s22, s11
	s_cbranch_execz .LBB4_187
; %bb.175:                              ;   in Loop: Header=BB4_57 Depth=2
	s_mov_b32 s27, exec_lo
	s_mov_b32 s24, exec_lo
	v_mbcnt_lo_u32_b32 v2, s27, 0
	;;#ASMSTART
	s_waitcnt lgkmcnt(0) vmcnt(0)
	;;#ASMEND
	v_cmpx_eq_u32_e32 0, v2
	s_cbranch_execz .LBB4_177
; %bb.176:                              ;   in Loop: Header=BB4_57 Depth=2
	s_bcnt1_i32_b32 s27, s27
	v_mov_b32_e32 v2, s27
	s_waitcnt vmcnt(0) lgkmcnt(0)
	s_waitcnt_vscnt null, 0x0
	ds_add_u64 v0, v[2:3]
	s_trap 2
.LBB4_177:                              ;   in Loop: Header=BB4_57 Depth=2
	s_or_b32 exec_lo, exec_lo, s24
	s_trap 2
	ds_read_b64 v[52:53], v0
	s_waitcnt vmcnt(0) lgkmcnt(0)
	buffer_gl0_inv
	v_add_co_u32 v12, vcc_lo, v12, v87
	v_add_co_ci_u32_e64 v13, null, 0, v13, vcc_lo
	s_mov_b32 s24, exec_lo
	v_cmpx_lt_u64_e64 v[52:53], v[12:13]
	s_cbranch_execz .LBB4_186
; %bb.178:                              ;   in Loop: Header=BB4_57 Depth=2
	s_mov_b32 s27, 0
	s_mov_b32 s75, 0
                                        ; implicit-def: $sgpr73
                                        ; implicit-def: $sgpr74
	s_inst_prefetch 0x1
	s_branch .LBB4_180
	.p2align	6
.LBB4_179:                              ;   in Loop: Header=BB4_180 Depth=3
	s_or_b32 exec_lo, exec_lo, s77
	s_and_b32 s76, exec_lo, s78
	s_or_b32 s27, s76, s27
	s_andn2_b32 s73, s73, exec_lo
	s_and_b32 s76, s74, exec_lo
	s_or_b32 s73, s73, s76
	s_andn2_b32 exec_lo, exec_lo, s27
	s_cbranch_execz .LBB4_184
.LBB4_180:                              ;   Parent Loop BB4_47 Depth=1
                                        ;     Parent Loop BB4_57 Depth=2
                                        ; =>    This Inner Loop Header: Depth=3
	s_add_i32 s75, s75, 1
	s_cmpk_lg_i32 s75, 0x2710
	s_cselect_b32 s76, -1, 0
	s_and_b32 vcc_lo, exec_lo, s76
	s_cbranch_vccz .LBB4_182
; %bb.181:                              ;   in Loop: Header=BB4_180 Depth=3
	s_mov_b32 s78, -1
	s_or_b32 s74, s74, exec_lo
	s_and_saveexec_b32 s77, s76
	s_cbranch_execz .LBB4_179
	s_branch .LBB4_183
	.p2align	6
.LBB4_182:                              ;   in Loop: Header=BB4_180 Depth=3
	s_trap 2
	ds_read_b64 v[52:53], v0
	s_andn2_b32 s76, s76, exec_lo
	s_mov_b32 s75, 0
	s_waitcnt lgkmcnt(0)
	s_waitcnt_vscnt null, 0x0
	flat_load_dword v2, v[52:53] glc dlc
	s_waitcnt vmcnt(0) lgkmcnt(0)
	buffer_gl1_inv
	buffer_gl0_inv
	v_cmp_eq_u32_e32 vcc_lo, 0, v2
	s_and_b32 s77, vcc_lo, exec_lo
	s_or_b32 s76, s76, s77
	s_mov_b32 s78, -1
	s_or_b32 s74, s74, exec_lo
	s_and_saveexec_b32 s77, s76
	s_cbranch_execz .LBB4_179
.LBB4_183:                              ;   in Loop: Header=BB4_180 Depth=3
	s_sleep 1
	s_trap 2
	ds_read_b64 v[52:53], v0
	s_waitcnt lgkmcnt(0)
	buffer_gl0_inv
	s_andn2_b32 s74, s74, exec_lo
	v_cmp_ge_u64_e32 vcc_lo, v[52:53], v[12:13]
	s_orn2_b32 s78, vcc_lo, exec_lo
	s_branch .LBB4_179
.LBB4_184:                              ;   in Loop: Header=BB4_57 Depth=2
	s_inst_prefetch 0x2
	s_or_b32 exec_lo, exec_lo, s27
	s_and_saveexec_b32 s27, s73
	s_xor_b32 s27, exec_lo, s27
	s_cbranch_execz .LBB4_186
; %bb.185:                              ;   in Loop: Header=BB4_57 Depth=2
	ds_write_b32 v0, v98
	s_trap 2
.LBB4_186:                              ;   in Loop: Header=BB4_57 Depth=2
	s_or_b32 exec_lo, exec_lo, s24
	;;#ASMSTART
	s_wakeup
	;;#ASMEND
.LBB4_187:                              ;   in Loop: Header=BB4_57 Depth=2
	s_or_b32 exec_lo, exec_lo, s22
.LBB4_188:                              ;   in Loop: Header=BB4_57 Depth=2
	s_andn2_saveexec_b32 s17, s17
	s_cbranch_execz .LBB4_190
; %bb.189:                              ;   in Loop: Header=BB4_57 Depth=2
	;;#ASMSTART
	s_waitcnt lgkmcnt(0) vmcnt(0)
	;;#ASMEND
	s_barrier
.LBB4_190:                              ;   in Loop: Header=BB4_57 Depth=2
	s_or_b32 exec_lo, exec_lo, s17
	v_and_b32_e32 v2, 16, v85
.LBB4_191:                              ;   in Loop: Header=BB4_57 Depth=2
	s_or_b32 exec_lo, exec_lo, s16
	s_mov_b32 s16, exec_lo
	v_cmpx_ne_u32_e32 0, v2
	s_cbranch_execz .LBB4_56
; %bb.192:                              ;   in Loop: Header=BB4_57 Depth=2
	s_and_saveexec_b32 s17, s10
	s_cbranch_execz .LBB4_55
; %bb.193:                              ;   in Loop: Header=BB4_57 Depth=2
	s_waitcnt vmcnt(0) lgkmcnt(0)
	s_waitcnt_vscnt null, 0x0
	flat_store_dword v[24:25], v98
	s_branch .LBB4_55
.LBB4_194:                              ;   in Loop: Header=BB4_47 Depth=1
	s_or_b32 exec_lo, exec_lo, s19
.LBB4_195:                              ;   in Loop: Header=BB4_47 Depth=1
	s_or_b32 exec_lo, exec_lo, s18
	s_mov_b32 s17, exec_lo
	v_cmpx_gt_i32_e32 2, v2
	s_cbranch_execz .LBB4_269
; %bb.196:                              ;   in Loop: Header=BB4_47 Depth=1
	v_cmp_eq_u32_e64 s19, 0, v2
	s_mov_b32 s18, 0
	s_branch .LBB4_199
.LBB4_197:                              ;   in Loop: Header=BB4_199 Depth=2
	s_or_b32 exec_lo, exec_lo, s19
	v_add_co_u32 v36, vcc_lo, v36, 2
	v_add_co_ci_u32_e64 v37, null, 0, v37, vcc_lo
	s_waitcnt vmcnt(0) lgkmcnt(0)
	s_waitcnt_vscnt null, 0x0
	flat_store_dwordx2 v[20:21], v[36:37]
.LBB4_198:                              ;   in Loop: Header=BB4_199 Depth=2
	s_or_b32 exec_lo, exec_lo, s16
	v_add_nc_u32_e32 v10, v8, v10
	s_mov_b32 s19, 0
	s_andn2_b32 exec_lo, exec_lo, s18
	s_cbranch_execz .LBB4_268
.LBB4_199:                              ;   Parent Loop BB4_47 Depth=1
                                        ; =>  This Loop Header: Depth=2
                                        ;       Child Loop BB4_205 Depth 3
                                        ;       Child Loop BB4_229 Depth 3
	;; [unrolled: 1-line block ×3, first 2 shown]
	v_sub_nc_u32_e32 v2, v68, v10
	v_and_b32_e32 v9, 8, v85
	s_mov_b32 s20, exec_lo
	v_min_i32_e32 v8, v8, v2
	v_cmpx_ne_u32_e32 0, v9
	s_cbranch_execz .LBB4_221
; %bb.200:                              ;   in Loop: Header=BB4_199 Depth=2
	s_waitcnt vmcnt(0) lgkmcnt(1)
	v_add_co_u32 v52, vcc_lo, v26, 8
	v_add_co_ci_u32_e64 v53, null, 0, v27, vcc_lo
	v_add_co_u32 v50, vcc_lo, v36, 2
	v_add_co_ci_u32_e64 v51, null, 0, v37, vcc_lo
	s_mov_b32 s21, exec_lo
	v_cmpx_lt_u64_e64 v[52:53], v[50:51]
	s_cbranch_execz .LBB4_212
; %bb.201:                              ;   in Loop: Header=BB4_199 Depth=2
	v_and_b32_e32 v2, 64, v85
	s_mov_b32 s22, 0
	s_mov_b32 s74, 0
                                        ; implicit-def: $sgpr24
                                        ; implicit-def: $sgpr27
                                        ; implicit-def: $sgpr73
	v_cmp_eq_u32_e32 vcc_lo, 0, v2
	s_branch .LBB4_205
.LBB4_202:                              ;   in Loop: Header=BB4_205 Depth=3
	s_waitcnt vmcnt(0) lgkmcnt(0)
	v_add_co_u32 v52, s16, v26, 8
	v_add_co_ci_u32_e64 v53, null, 0, v27, s16
	s_or_b32 s77, s77, exec_lo
	v_cmp_ge_u64_e64 s16, v[52:53], v[50:51]
	s_orn2_b32 s76, s16, exec_lo
.LBB4_203:                              ;   in Loop: Header=BB4_205 Depth=3
	s_or_b32 exec_lo, exec_lo, s79
	s_andn2_b32 s16, s73, exec_lo
	s_and_b32 s73, s77, exec_lo
	s_andn2_b32 s27, s27, exec_lo
	s_and_b32 s76, s76, exec_lo
	s_or_b32 s73, s16, s73
	s_or_b32 s27, s27, s76
.LBB4_204:                              ;   in Loop: Header=BB4_205 Depth=3
	s_or_b32 exec_lo, exec_lo, s75
	s_and_b32 s16, exec_lo, s27
	s_or_b32 s22, s16, s22
	s_andn2_b32 s16, s24, exec_lo
	s_and_b32 s24, s73, exec_lo
	s_or_b32 s24, s16, s24
	s_andn2_b32 exec_lo, exec_lo, s22
	s_cbranch_execz .LBB4_209
.LBB4_205:                              ;   Parent Loop BB4_47 Depth=1
                                        ;     Parent Loop BB4_199 Depth=2
                                        ; =>    This Inner Loop Header: Depth=3
	s_sleep 1
	s_waitcnt vmcnt(0) lgkmcnt(0)
	flat_load_dwordx2 v[26:27], v[20:21] glc dlc
	s_or_b32 s73, s73, exec_lo
	s_or_b32 s27, s27, exec_lo
                                        ; implicit-def: $vgpr2
	s_and_saveexec_b32 s75, vcc_lo
	s_cbranch_execz .LBB4_204
; %bb.206:                              ;   in Loop: Header=BB4_205 Depth=3
	s_cmpk_lt_i32 s74, 0x270f
	s_mov_b32 s76, -1
	s_cselect_b32 s78, -1, 0
	s_cmpk_gt_i32 s74, 0x270e
	s_cbranch_scc0 .LBB4_208
; %bb.207:                              ;   in Loop: Header=BB4_205 Depth=3
	s_trap 2
	ds_read_b64 v[52:53], v0
	s_andn2_b32 s74, s78, exec_lo
	s_mov_b32 s77, 0
	s_waitcnt vmcnt(0) lgkmcnt(0)
	s_waitcnt_vscnt null, 0x0
	flat_load_dword v2, v[52:53] glc dlc
	s_waitcnt vmcnt(0) lgkmcnt(0)
	buffer_gl1_inv
	buffer_gl0_inv
	v_cmp_eq_u32_e64 s16, 0, v2
	s_and_b32 s16, s16, exec_lo
	s_or_b32 s78, s74, s16
	s_mov_b32 s74, 0
	s_and_saveexec_b32 s79, s78
	s_cbranch_execz .LBB4_203
	s_branch .LBB4_202
.LBB4_208:                              ;   in Loop: Header=BB4_205 Depth=3
	s_add_i32 s74, s74, 1
	s_mov_b32 s77, -1
                                        ; implicit-def: $vgpr2
	s_and_saveexec_b32 s79, s78
	s_cbranch_execz .LBB4_203
	s_branch .LBB4_202
.LBB4_209:                              ;   in Loop: Header=BB4_199 Depth=2
	s_or_b32 exec_lo, exec_lo, s22
	s_xor_b32 s16, s24, -1
	s_and_saveexec_b32 s22, s16
	s_xor_b32 s16, exec_lo, s22
	s_cbranch_execz .LBB4_211
; %bb.210:                              ;   in Loop: Header=BB4_199 Depth=2
	v_or_b32_e32 v85, 64, v85
	s_waitcnt vmcnt(0) lgkmcnt(0)
	s_waitcnt_vscnt null, 0x0
	ds_write_b32 v0, v2
	s_trap 2
.LBB4_211:                              ;   in Loop: Header=BB4_199 Depth=2
	s_or_b32 exec_lo, exec_lo, s16
.LBB4_212:                              ;   in Loop: Header=BB4_199 Depth=2
	s_or_b32 exec_lo, exec_lo, s21
	v_and_b32_e32 v2, 0x100, v85
	s_mov_b32 s21, 0
	s_mov_b32 s16, exec_lo
	;;#ASMSTART
	s_wakeup
	;;#ASMEND
                                        ; implicit-def: $vgpr52_vgpr53
	v_cmpx_ne_u32_e32 0, v2
	s_xor_b32 s16, exec_lo, s16
                                        ; implicit-def: $vgpr2
	s_cbranch_execz .LBB4_233
; %bb.213:                              ;   in Loop: Header=BB4_199 Depth=2
	v_and_b32_e32 v2, 7, v36
	v_ashrrev_i32_e32 v9, 31, v8
	s_mov_b32 s21, -1
	s_mov_b32 s22, exec_lo
	v_mad_u64_u32 v[36:37], null, v2, 24, v[6:7]
	v_lshlrev_b64 v[52:53], 3, v[8:9]
	flat_load_dword v11, v[36:37]
	flat_store_dwordx2 v[36:37], v[52:53] offset:8
                                        ; implicit-def: $vgpr52_vgpr53
	s_waitcnt vmcnt(0) lgkmcnt(1)
	v_cmpx_eq_u32_e32 1, v11
	s_cbranch_execz .LBB4_215
; %bb.214:                              ;   in Loop: Header=BB4_199 Depth=2
	flat_load_dword v36, v[36:37] offset:4 glc dlc
	s_xor_b32 s21, exec_lo, -1
	s_waitcnt vmcnt(0) lgkmcnt(0)
	v_ashrrev_i32_e32 v37, 31, v36
	v_lshrrev_b64 v[52:53], 3, v[36:37]
.LBB4_215:                              ;   in Loop: Header=BB4_199 Depth=2
	s_or_b32 exec_lo, exec_lo, s22
	s_and_b32 s21, s21, exec_lo
                                        ; implicit-def: $vgpr36_vgpr37
	s_andn2_saveexec_b32 s16, s16
	s_cbranch_execnz .LBB4_234
.LBB4_216:                              ;   in Loop: Header=BB4_199 Depth=2
	s_or_b32 exec_lo, exec_lo, s16
	s_and_saveexec_b32 s16, s21
.LBB4_217:                              ;   in Loop: Header=BB4_199 Depth=2
	v_mul_lo_u32 v9, v3, v86
	v_mul_lo_u32 v11, v2, v30
	v_mad_u64_u32 v[52:53], null, v2, v86, 0
	v_add3_u32 v53, v53, v11, v9
.LBB4_218:                              ;   in Loop: Header=BB4_199 Depth=2
	s_or_b32 exec_lo, exec_lo, s16
	v_lshlrev_b64 v[36:37], 3, v[52:53]
	v_and_b32_e32 v2, 0x2000, v85
	s_mov_b32 s16, exec_lo
	v_add_co_u32 v36, vcc_lo, v22, v36
	v_add_co_ci_u32_e64 v37, null, v23, v37, vcc_lo
	ds_write_b64 v0, v[36:37] offset:784
	v_cmpx_ne_u32_e32 0, v2
	s_cbranch_execz .LBB4_220
; %bb.219:                              ;   in Loop: Header=BB4_199 Depth=2
	ds_read_b64 v[36:37], v0 offset:872
	s_waitcnt lgkmcnt(0)
	v_add_co_u32 v36, vcc_lo, v36, 1
	v_add_co_ci_u32_e64 v37, null, 0, v37, vcc_lo
	ds_write_b64 v0, v[36:37] offset:872
.LBB4_220:                              ;   in Loop: Header=BB4_199 Depth=2
	s_or_b32 exec_lo, exec_lo, s16
	v_mov_b32_e32 v36, v50
	v_mov_b32_e32 v37, v51
.LBB4_221:                              ;   in Loop: Header=BB4_199 Depth=2
	s_or_b32 exec_lo, exec_lo, s20
	s_xor_b32 s16, s19, -1
	s_and_b32 s16, exec_lo, s16
	s_or_b32 s18, s16, s18
	s_and_saveexec_b32 s16, s6
	s_cbranch_execz .LBB4_242
; %bb.222:                              ;   in Loop: Header=BB4_199 Depth=2
	s_and_saveexec_b32 s19, s42
	s_xor_b32 s19, exec_lo, s19
	s_cbranch_execz .LBB4_239
; %bb.223:                              ;   in Loop: Header=BB4_199 Depth=2
	s_and_saveexec_b32 s20, s11
	s_cbranch_execz .LBB4_238
; %bb.224:                              ;   in Loop: Header=BB4_199 Depth=2
	s_mov_b32 s22, exec_lo
	s_mov_b32 s21, exec_lo
	v_mbcnt_lo_u32_b32 v2, s22, 0
	s_waitcnt vmcnt(0) lgkmcnt(0)
	s_waitcnt_vscnt null, 0x0
	buffer_gl1_inv
	buffer_gl0_inv
	v_cmpx_eq_u32_e32 0, v2
	s_cbranch_execz .LBB4_226
; %bb.225:                              ;   in Loop: Header=BB4_199 Depth=2
	s_bcnt1_i32_b32 s22, s22
	v_mov_b32_e32 v2, s22
	ds_add_u64 v0, v[2:3]
	s_trap 2
.LBB4_226:                              ;   in Loop: Header=BB4_199 Depth=2
	s_or_b32 exec_lo, exec_lo, s21
	s_trap 2
	ds_read_b64 v[50:51], v0
	s_waitcnt lgkmcnt(0)
	buffer_gl0_inv
	v_add_co_u32 v12, vcc_lo, v12, v87
	v_add_co_ci_u32_e64 v13, null, 0, v13, vcc_lo
	s_mov_b32 s21, exec_lo
	v_cmpx_lt_u64_e64 v[50:51], v[12:13]
	s_cbranch_execz .LBB4_237
; %bb.227:                              ;   in Loop: Header=BB4_199 Depth=2
	s_mov_b32 s22, 0
	s_mov_b32 s73, 0
                                        ; implicit-def: $sgpr24
                                        ; implicit-def: $sgpr27
	s_inst_prefetch 0x1
	s_branch .LBB4_229
	.p2align	6
.LBB4_228:                              ;   in Loop: Header=BB4_229 Depth=3
	s_or_b32 exec_lo, exec_lo, s75
	s_and_b32 s74, exec_lo, s76
	s_or_b32 s22, s74, s22
	s_andn2_b32 s24, s24, exec_lo
	s_and_b32 s74, s27, exec_lo
	s_or_b32 s24, s24, s74
	s_andn2_b32 exec_lo, exec_lo, s22
	s_cbranch_execz .LBB4_235
.LBB4_229:                              ;   Parent Loop BB4_47 Depth=1
                                        ;     Parent Loop BB4_199 Depth=2
                                        ; =>    This Inner Loop Header: Depth=3
	s_add_i32 s73, s73, 1
	s_cmpk_lg_i32 s73, 0x2710
	s_cselect_b32 s74, -1, 0
	s_and_b32 vcc_lo, exec_lo, s74
	s_cbranch_vccz .LBB4_231
; %bb.230:                              ;   in Loop: Header=BB4_229 Depth=3
	s_mov_b32 s76, -1
	s_or_b32 s27, s27, exec_lo
	s_and_saveexec_b32 s75, s74
	s_cbranch_execz .LBB4_228
	s_branch .LBB4_232
	.p2align	6
.LBB4_231:                              ;   in Loop: Header=BB4_229 Depth=3
	s_trap 2
	ds_read_b64 v[50:51], v0
	s_andn2_b32 s74, s74, exec_lo
	s_mov_b32 s73, 0
	s_waitcnt lgkmcnt(0)
	flat_load_dword v2, v[50:51] glc dlc
	s_waitcnt vmcnt(0) lgkmcnt(0)
	buffer_gl1_inv
	buffer_gl0_inv
	v_cmp_eq_u32_e32 vcc_lo, 0, v2
	s_and_b32 s75, vcc_lo, exec_lo
	s_or_b32 s74, s74, s75
	s_mov_b32 s76, -1
	s_or_b32 s27, s27, exec_lo
	s_and_saveexec_b32 s75, s74
	s_cbranch_execz .LBB4_228
.LBB4_232:                              ;   in Loop: Header=BB4_229 Depth=3
	s_sleep 1
	s_trap 2
	ds_read_b64 v[50:51], v0
	s_waitcnt lgkmcnt(0)
	buffer_gl0_inv
	s_andn2_b32 s27, s27, exec_lo
	v_cmp_ge_u64_e32 vcc_lo, v[50:51], v[12:13]
	s_orn2_b32 s76, vcc_lo, exec_lo
	s_branch .LBB4_228
.LBB4_233:                              ;   in Loop: Header=BB4_199 Depth=2
	s_andn2_saveexec_b32 s16, s16
	s_cbranch_execz .LBB4_216
.LBB4_234:                              ;   in Loop: Header=BB4_199 Depth=2
	v_and_b32_e32 v2, 7, v36
	s_or_b32 s21, s21, exec_lo
	s_or_b32 exec_lo, exec_lo, s16
	s_and_saveexec_b32 s16, s21
	s_cbranch_execnz .LBB4_217
	s_branch .LBB4_218
.LBB4_235:                              ;   in Loop: Header=BB4_199 Depth=2
	s_inst_prefetch 0x2
	s_or_b32 exec_lo, exec_lo, s22
	s_and_saveexec_b32 s22, s24
	s_xor_b32 s22, exec_lo, s22
	s_cbranch_execz .LBB4_237
; %bb.236:                              ;   in Loop: Header=BB4_199 Depth=2
	ds_write_b32 v0, v98
	s_trap 2
.LBB4_237:                              ;   in Loop: Header=BB4_199 Depth=2
	s_or_b32 exec_lo, exec_lo, s21
	;;#ASMSTART
	s_wakeup
	;;#ASMEND
.LBB4_238:                              ;   in Loop: Header=BB4_199 Depth=2
	s_or_b32 exec_lo, exec_lo, s20
.LBB4_239:                              ;   in Loop: Header=BB4_199 Depth=2
	s_andn2_saveexec_b32 s19, s19
	s_cbranch_execz .LBB4_241
; %bb.240:                              ;   in Loop: Header=BB4_199 Depth=2
	s_waitcnt vmcnt(0) lgkmcnt(0)
	s_waitcnt_vscnt null, 0x0
	buffer_gl1_inv
	buffer_gl0_inv
	s_barrier
.LBB4_241:                              ;   in Loop: Header=BB4_199 Depth=2
	s_or_b32 exec_lo, exec_lo, s19
.LBB4_242:                              ;   in Loop: Header=BB4_199 Depth=2
	s_or_b32 exec_lo, exec_lo, s16
                                        ; implicit-def: $vgpr2
	s_and_saveexec_b32 s16, s15
	s_xor_b32 s19, exec_lo, s16
	s_cbranch_execz .LBB4_246
; %bb.243:                              ;   in Loop: Header=BB4_199 Depth=2
	s_trap 2
	ds_read_b32 v2, v0
	v_cmp_lt_i32_e32 vcc_lo, 0, v8
	s_waitcnt lgkmcnt(0)
	v_readfirstlane_b32 s16, v2
	v_and_b32_e32 v2, 16, v85
	s_cmp_eq_u32 s16, 0
	v_cmp_ne_u32_e64 s16, 0, v2
	s_cselect_b32 s20, -1, 0
	v_and_b32_e32 v2, 16, v85
	s_and_b32 s20, vcc_lo, s20
	s_and_b32 s20, s16, s20
	s_and_saveexec_b32 s16, s20
	s_cbranch_execz .LBB4_245
; %bb.244:                              ;   in Loop: Header=BB4_199 Depth=2
	v_mov_b32_e32 v2, 1
	s_waitcnt vmcnt(0)
	s_waitcnt_vscnt null, 0x0
	buffer_gl1_inv
	buffer_gl0_inv
.LBB4_245:                              ;   in Loop: Header=BB4_199 Depth=2
	s_or_b32 exec_lo, exec_lo, s16
	s_andn2_saveexec_b32 s16, s19
	s_cbranch_execz .LBB4_265
	s_branch .LBB4_247
.LBB4_246:                              ;   in Loop: Header=BB4_199 Depth=2
	s_andn2_saveexec_b32 s16, s19
	s_cbranch_execz .LBB4_265
.LBB4_247:                              ;   in Loop: Header=BB4_199 Depth=2
	s_and_saveexec_b32 s19, s42
	s_xor_b32 s19, exec_lo, s19
	s_cbranch_execz .LBB4_262
; %bb.248:                              ;   in Loop: Header=BB4_199 Depth=2
	s_and_saveexec_b32 s20, s11
	s_cbranch_execz .LBB4_261
; %bb.249:                              ;   in Loop: Header=BB4_199 Depth=2
	s_mov_b32 s22, exec_lo
	s_mov_b32 s21, exec_lo
	v_mbcnt_lo_u32_b32 v2, s22, 0
	;;#ASMSTART
	s_waitcnt lgkmcnt(0) vmcnt(0)
	;;#ASMEND
	v_cmpx_eq_u32_e32 0, v2
	s_cbranch_execz .LBB4_251
; %bb.250:                              ;   in Loop: Header=BB4_199 Depth=2
	s_bcnt1_i32_b32 s22, s22
	v_mov_b32_e32 v2, s22
	s_waitcnt vmcnt(0) lgkmcnt(0)
	s_waitcnt_vscnt null, 0x0
	ds_add_u64 v0, v[2:3]
	s_trap 2
.LBB4_251:                              ;   in Loop: Header=BB4_199 Depth=2
	s_or_b32 exec_lo, exec_lo, s21
	s_trap 2
	ds_read_b64 v[50:51], v0
	s_waitcnt vmcnt(0) lgkmcnt(0)
	buffer_gl0_inv
	v_add_co_u32 v12, vcc_lo, v12, v87
	v_add_co_ci_u32_e64 v13, null, 0, v13, vcc_lo
	s_mov_b32 s21, exec_lo
	v_cmpx_lt_u64_e64 v[50:51], v[12:13]
	s_cbranch_execz .LBB4_260
; %bb.252:                              ;   in Loop: Header=BB4_199 Depth=2
	s_mov_b32 s22, 0
	s_mov_b32 s73, 0
                                        ; implicit-def: $sgpr24
                                        ; implicit-def: $sgpr27
	s_inst_prefetch 0x1
	s_branch .LBB4_254
	.p2align	6
.LBB4_253:                              ;   in Loop: Header=BB4_254 Depth=3
	s_or_b32 exec_lo, exec_lo, s75
	s_and_b32 s74, exec_lo, s76
	s_or_b32 s22, s74, s22
	s_andn2_b32 s24, s24, exec_lo
	s_and_b32 s74, s27, exec_lo
	s_or_b32 s24, s24, s74
	s_andn2_b32 exec_lo, exec_lo, s22
	s_cbranch_execz .LBB4_258
.LBB4_254:                              ;   Parent Loop BB4_47 Depth=1
                                        ;     Parent Loop BB4_199 Depth=2
                                        ; =>    This Inner Loop Header: Depth=3
	s_add_i32 s73, s73, 1
	s_cmpk_lg_i32 s73, 0x2710
	s_cselect_b32 s74, -1, 0
	s_and_b32 vcc_lo, exec_lo, s74
	s_cbranch_vccz .LBB4_256
; %bb.255:                              ;   in Loop: Header=BB4_254 Depth=3
	s_mov_b32 s76, -1
	s_or_b32 s27, s27, exec_lo
	s_and_saveexec_b32 s75, s74
	s_cbranch_execz .LBB4_253
	s_branch .LBB4_257
	.p2align	6
.LBB4_256:                              ;   in Loop: Header=BB4_254 Depth=3
	s_trap 2
	ds_read_b64 v[50:51], v0
	s_andn2_b32 s74, s74, exec_lo
	s_mov_b32 s73, 0
	s_waitcnt lgkmcnt(0)
	s_waitcnt_vscnt null, 0x0
	flat_load_dword v2, v[50:51] glc dlc
	s_waitcnt vmcnt(0) lgkmcnt(0)
	buffer_gl1_inv
	buffer_gl0_inv
	v_cmp_eq_u32_e32 vcc_lo, 0, v2
	s_and_b32 s75, vcc_lo, exec_lo
	s_or_b32 s74, s74, s75
	s_mov_b32 s76, -1
	s_or_b32 s27, s27, exec_lo
	s_and_saveexec_b32 s75, s74
	s_cbranch_execz .LBB4_253
.LBB4_257:                              ;   in Loop: Header=BB4_254 Depth=3
	s_sleep 1
	s_trap 2
	ds_read_b64 v[50:51], v0
	s_waitcnt lgkmcnt(0)
	buffer_gl0_inv
	s_andn2_b32 s27, s27, exec_lo
	v_cmp_ge_u64_e32 vcc_lo, v[50:51], v[12:13]
	s_orn2_b32 s76, vcc_lo, exec_lo
	s_branch .LBB4_253
.LBB4_258:                              ;   in Loop: Header=BB4_199 Depth=2
	s_inst_prefetch 0x2
	s_or_b32 exec_lo, exec_lo, s22
	s_and_saveexec_b32 s22, s24
	s_xor_b32 s22, exec_lo, s22
	s_cbranch_execz .LBB4_260
; %bb.259:                              ;   in Loop: Header=BB4_199 Depth=2
	ds_write_b32 v0, v98
	s_trap 2
.LBB4_260:                              ;   in Loop: Header=BB4_199 Depth=2
	s_or_b32 exec_lo, exec_lo, s21
	;;#ASMSTART
	s_wakeup
	;;#ASMEND
.LBB4_261:                              ;   in Loop: Header=BB4_199 Depth=2
	s_or_b32 exec_lo, exec_lo, s20
.LBB4_262:                              ;   in Loop: Header=BB4_199 Depth=2
	s_andn2_saveexec_b32 s19, s19
	s_cbranch_execz .LBB4_264
; %bb.263:                              ;   in Loop: Header=BB4_199 Depth=2
	;;#ASMSTART
	s_waitcnt lgkmcnt(0) vmcnt(0)
	;;#ASMEND
	s_barrier
.LBB4_264:                              ;   in Loop: Header=BB4_199 Depth=2
	s_or_b32 exec_lo, exec_lo, s19
	v_and_b32_e32 v2, 16, v85
.LBB4_265:                              ;   in Loop: Header=BB4_199 Depth=2
	s_or_b32 exec_lo, exec_lo, s16
	s_mov_b32 s16, exec_lo
	v_cmpx_ne_u32_e32 0, v2
	s_cbranch_execz .LBB4_198
; %bb.266:                              ;   in Loop: Header=BB4_199 Depth=2
	s_and_saveexec_b32 s19, s10
	s_cbranch_execz .LBB4_197
; %bb.267:                              ;   in Loop: Header=BB4_199 Depth=2
	s_waitcnt vmcnt(0) lgkmcnt(0)
	s_waitcnt_vscnt null, 0x0
	flat_store_dword v[24:25], v98
	s_branch .LBB4_197
.LBB4_268:                              ;   in Loop: Header=BB4_47 Depth=1
	s_or_b32 exec_lo, exec_lo, s18
.LBB4_269:                              ;   in Loop: Header=BB4_47 Depth=1
	s_or_b32 exec_lo, exec_lo, s17
	s_andn2_b32 vcc_lo, exec_lo, s57
	s_cbranch_vccnz .LBB4_494
; %bb.270:                              ;   in Loop: Header=BB4_47 Depth=1
	s_mov_b32 s18, 2
	s_branch .LBB4_273
.LBB4_271:                              ;   in Loop: Header=BB4_273 Depth=2
	s_or_b32 exec_lo, exec_lo, s19
.LBB4_272:                              ;   in Loop: Header=BB4_273 Depth=2
	s_or_b32 exec_lo, exec_lo, s17
	s_add_i32 s18, s18, 1
	s_cmp_eq_u32 s18, s29
	s_cbranch_scc1 .LBB4_494
.LBB4_273:                              ;   Parent Loop BB4_47 Depth=1
                                        ; =>  This Loop Header: Depth=2
                                        ;       Child Loop BB4_276 Depth 3
                                        ;         Child Loop BB4_284 Depth 4
                                        ;         Child Loop BB4_312 Depth 4
	;; [unrolled: 1-line block ×9, first 2 shown]
                                        ;       Child Loop BB4_422 Depth 3
                                        ;         Child Loop BB4_428 Depth 4
                                        ;         Child Loop BB4_456 Depth 4
	;; [unrolled: 1-line block ×3, first 2 shown]
	s_sub_i32 s16, s45, s18
	v_mov_b32_e32 v10, 0
	s_cmp_ge_i32 s16, s29
	s_mov_b32 s20, 0
	s_cselect_b32 s17, s29, 0
	s_sub_i32 s16, s16, s17
	s_ashr_i32 s17, s16, 31
	v_mul_lo_u32 v2, v35, s16
	v_mad_u64_u32 v[50:51], null, v34, s16, 0
	v_mul_lo_u32 v8, v34, s17
	v_add3_u32 v51, v51, v8, v2
	v_sub_co_u32 v8, vcc_lo, v38, v50
	v_sub_co_ci_u32_e64 v9, null, v39, v51, vcc_lo
	v_cmp_lt_i64_e32 vcc_lo, v[34:35], v[8:9]
	v_cndmask_b32_e32 v8, v8, v34, vcc_lo
	v_max_i32_e32 v70, 0, v8
	v_cmp_lt_i32_e32 vcc_lo, 0, v8
	v_add_nc_u32_e32 v2, 31, v70
	s_and_b32 s16, s60, vcc_lo
	v_lshrrev_b32_e32 v2, 1, v2
	v_and_b32_e32 v9, 0x3ffffff0, v2
	v_mov_b32_e32 v2, 0
	v_max_i32_e32 v8, s56, v9
	s_and_saveexec_b32 s19, s16
	s_cbranch_execz .LBB4_419
; %bb.274:                              ;   in Loop: Header=BB4_273 Depth=2
	v_lshlrev_b64 v[50:51], 3, v[50:51]
	v_mov_b32_e32 v10, 0
	s_mov_b32 s22, 1
	s_mov_b32 s21, -1
	s_branch .LBB4_276
.LBB4_275:                              ;   in Loop: Header=BB4_276 Depth=3
	s_or_b32 exec_lo, exec_lo, s16
	v_add_nc_u32_e32 v10, v8, v10
	s_xor_b32 s16, s21, -1
	v_mov_b32_e32 v2, s22
	s_mov_b32 s21, 0
	s_mov_b32 s22, 2
	v_cmp_ge_i32_e32 vcc_lo, v10, v70
	s_or_b32 s16, s16, vcc_lo
	s_and_b32 s16, exec_lo, s16
	s_or_b32 s20, s16, s20
	s_andn2_b32 exec_lo, exec_lo, s20
	s_cbranch_execz .LBB4_418
.LBB4_276:                              ;   Parent Loop BB4_47 Depth=1
                                        ;     Parent Loop BB4_273 Depth=2
                                        ; =>    This Loop Header: Depth=3
                                        ;         Child Loop BB4_284 Depth 4
                                        ;         Child Loop BB4_312 Depth 4
	;; [unrolled: 1-line block ×9, first 2 shown]
	s_and_saveexec_b32 s16, s4
	s_cbranch_execz .LBB4_278
; %bb.277:                              ;   in Loop: Header=BB4_276 Depth=3
	s_trap 2
	ds_read_b64 v[52:53], v0
	v_lshlrev_b64 v[54:55], 3, v[48:49]
	v_ashrrev_i32_e32 v11, 31, v10
	s_waitcnt lgkmcnt(0)
	v_add_co_u32 v2, vcc_lo, v52, v54
	v_add_co_ci_u32_e64 v9, null, v53, v55, vcc_lo
	v_lshlrev_b64 v[52:53], 3, v[10:11]
	v_add_co_u32 v2, vcc_lo, v2, v50
	v_add_co_ci_u32_e64 v9, null, v9, v51, vcc_lo
	v_add_co_u32 v52, vcc_lo, v2, v52
	v_add_co_ci_u32_e64 v53, null, v9, v53, vcc_lo
	v_mov_b32_e32 v2, v3
	ds_write_b64 v0, v[52:53]
	ds_write_b64 v0, v[2:3]
.LBB4_278:                              ;   in Loop: Header=BB4_276 Depth=3
	s_or_b32 exec_lo, exec_lo, s16
	v_sub_nc_u32_e32 v2, v70, v10
	v_and_b32_e32 v9, 12, v85
	s_mov_b32 s17, exec_lo
	v_min_i32_e32 v8, v8, v2
	v_cmpx_ne_u32_e32 0, v9
	s_cbranch_execz .LBB4_304
; %bb.279:                              ;   in Loop: Header=BB4_276 Depth=3
	v_and_b32_e32 v2, 8, v85
	s_mov_b32 s24, exec_lo
	s_waitcnt vmcnt(0) lgkmcnt(1)
	v_add_co_u32 v54, vcc_lo, v26, v2
	v_add_co_ci_u32_e64 v55, null, 0, v27, vcc_lo
	v_add_co_u32 v52, vcc_lo, v36, 2
	v_add_co_ci_u32_e64 v53, null, 0, v37, vcc_lo
	v_cmpx_lt_u64_e64 v[54:55], v[52:53]
	s_cbranch_execz .LBB4_291
; %bb.280:                              ;   in Loop: Header=BB4_276 Depth=3
	v_and_b32_e32 v9, 64, v85
	s_mov_b32 s27, 0
	s_mov_b32 s76, 0
                                        ; implicit-def: $sgpr73
                                        ; implicit-def: $sgpr74
                                        ; implicit-def: $sgpr75
	v_cmp_eq_u32_e32 vcc_lo, 0, v9
	s_branch .LBB4_284
.LBB4_281:                              ;   in Loop: Header=BB4_284 Depth=4
	s_waitcnt vmcnt(0) lgkmcnt(0)
	v_add_co_u32 v54, s16, v26, v2
	v_add_co_ci_u32_e64 v55, null, 0, v27, s16
	s_or_b32 s79, s79, exec_lo
	v_cmp_ge_u64_e64 s16, v[54:55], v[52:53]
	s_orn2_b32 s78, s16, exec_lo
.LBB4_282:                              ;   in Loop: Header=BB4_284 Depth=4
	s_or_b32 exec_lo, exec_lo, s89
	s_andn2_b32 s16, s75, exec_lo
	s_and_b32 s75, s79, exec_lo
	s_andn2_b32 s74, s74, exec_lo
	s_and_b32 s78, s78, exec_lo
	s_or_b32 s75, s16, s75
	s_or_b32 s74, s74, s78
.LBB4_283:                              ;   in Loop: Header=BB4_284 Depth=4
	s_or_b32 exec_lo, exec_lo, s77
	s_and_b32 s16, exec_lo, s74
	s_or_b32 s27, s16, s27
	s_andn2_b32 s16, s73, exec_lo
	s_and_b32 s73, s75, exec_lo
	s_or_b32 s73, s16, s73
	s_andn2_b32 exec_lo, exec_lo, s27
	s_cbranch_execz .LBB4_288
.LBB4_284:                              ;   Parent Loop BB4_47 Depth=1
                                        ;     Parent Loop BB4_273 Depth=2
                                        ;       Parent Loop BB4_276 Depth=3
                                        ; =>      This Inner Loop Header: Depth=4
	s_sleep 1
	s_waitcnt vmcnt(0) lgkmcnt(0)
	flat_load_dwordx2 v[26:27], v[20:21] glc dlc
	s_or_b32 s75, s75, exec_lo
	s_or_b32 s74, s74, exec_lo
                                        ; implicit-def: $vgpr9
	s_and_saveexec_b32 s77, vcc_lo
	s_cbranch_execz .LBB4_283
; %bb.285:                              ;   in Loop: Header=BB4_284 Depth=4
	s_cmpk_lt_i32 s76, 0x270f
	s_mov_b32 s78, -1
	s_cselect_b32 s88, -1, 0
	s_cmpk_gt_i32 s76, 0x270e
	s_cbranch_scc0 .LBB4_287
; %bb.286:                              ;   in Loop: Header=BB4_284 Depth=4
	s_trap 2
	ds_read_b64 v[54:55], v0
	s_andn2_b32 s76, s88, exec_lo
	s_mov_b32 s79, 0
	s_waitcnt vmcnt(0) lgkmcnt(0)
	s_waitcnt_vscnt null, 0x0
	flat_load_dword v9, v[54:55] glc dlc
	s_waitcnt vmcnt(0) lgkmcnt(0)
	buffer_gl1_inv
	buffer_gl0_inv
	v_cmp_eq_u32_e64 s16, 0, v9
	s_and_b32 s16, s16, exec_lo
	s_or_b32 s88, s76, s16
	s_mov_b32 s76, 0
	s_and_saveexec_b32 s89, s88
	s_cbranch_execz .LBB4_282
	s_branch .LBB4_281
.LBB4_287:                              ;   in Loop: Header=BB4_284 Depth=4
	s_add_i32 s76, s76, 1
	s_mov_b32 s79, -1
                                        ; implicit-def: $vgpr9
	s_and_saveexec_b32 s89, s88
	s_cbranch_execz .LBB4_282
	s_branch .LBB4_281
.LBB4_288:                              ;   in Loop: Header=BB4_276 Depth=3
	s_or_b32 exec_lo, exec_lo, s27
	s_xor_b32 s16, s73, -1
	s_and_saveexec_b32 s27, s16
	s_xor_b32 s16, exec_lo, s27
	s_cbranch_execz .LBB4_290
; %bb.289:                              ;   in Loop: Header=BB4_276 Depth=3
	v_or_b32_e32 v85, 64, v85
	s_waitcnt vmcnt(0) lgkmcnt(0)
	s_waitcnt_vscnt null, 0x0
	ds_write_b32 v0, v9
	s_trap 2
.LBB4_290:                              ;   in Loop: Header=BB4_276 Depth=3
	s_or_b32 exec_lo, exec_lo, s16
.LBB4_291:                              ;   in Loop: Header=BB4_276 Depth=3
	s_or_b32 exec_lo, exec_lo, s24
	v_and_b32_e32 v9, 0x108, v85
	s_mov_b32 s16, exec_lo
	;;#ASMSTART
	s_wakeup
	;;#ASMEND
	v_cmpx_ne_u32_e32 0x108, v9
	s_xor_b32 s16, exec_lo, s16
                                        ; implicit-def: $vgpr11
; %bb.292:                              ;   in Loop: Header=BB4_276 Depth=3
	v_and_b32_e32 v11, 7, v36
                                        ; implicit-def: $vgpr36_vgpr37
; %bb.293:                              ;   in Loop: Header=BB4_276 Depth=3
	s_andn2_saveexec_b32 s16, s16
	s_cbranch_execz .LBB4_295
; %bb.294:                              ;   in Loop: Header=BB4_276 Depth=3
	v_and_b32_e32 v11, 7, v36
	v_ashrrev_i32_e32 v9, 31, v8
	v_mad_u64_u32 v[36:37], null, v11, 24, v[6:7]
	v_lshlrev_b64 v[54:55], 3, v[8:9]
	flat_store_dwordx2 v[36:37], v[54:55] offset:8
.LBB4_295:                              ;   in Loop: Header=BB4_276 Depth=3
	s_or_b32 exec_lo, exec_lo, s16
	v_and_b32_e32 v9, 0x100, v85
	s_mov_b32 s16, -1
	s_mov_b32 s24, exec_lo
                                        ; implicit-def: $vgpr36_vgpr37
	v_cmpx_ne_u32_e32 0, v9
	s_cbranch_execz .LBB4_299
; %bb.296:                              ;   in Loop: Header=BB4_276 Depth=3
	v_mad_u64_u32 v[54:55], null, v11, 24, v[6:7]
	s_mov_b32 s27, exec_lo
	v_mov_b32_e32 v9, v55
	v_mad_u64_u32 v[36:37], null, v3, 24, v[9:10]
	v_mov_b32_e32 v55, v36
                                        ; implicit-def: $vgpr36_vgpr37
	flat_load_dword v9, v[54:55]
	s_waitcnt vmcnt(0) lgkmcnt(0)
	v_cmp_ne_u32_e32 vcc_lo, 1, v9
	v_cmpx_eq_u32_e32 1, v9
	s_cbranch_execz .LBB4_298
; %bb.297:                              ;   in Loop: Header=BB4_276 Depth=3
	flat_load_dword v36, v[54:55] offset:4 glc dlc
	s_waitcnt vmcnt(0) lgkmcnt(0)
	v_ashrrev_i32_e32 v37, 31, v36
	v_lshrrev_b64 v[36:37], 3, v[36:37]
.LBB4_298:                              ;   in Loop: Header=BB4_276 Depth=3
	s_or_b32 exec_lo, exec_lo, s27
	s_orn2_b32 s16, vcc_lo, exec_lo
.LBB4_299:                              ;   in Loop: Header=BB4_276 Depth=3
	s_or_b32 exec_lo, exec_lo, s24
	s_and_saveexec_b32 s24, s16
; %bb.300:                              ;   in Loop: Header=BB4_276 Depth=3
	v_mul_lo_u32 v9, v3, v86
	v_mul_lo_u32 v54, v11, v30
	v_mad_u64_u32 v[36:37], null, v11, v86, 0
	v_add3_u32 v37, v37, v54, v9
; %bb.301:                              ;   in Loop: Header=BB4_276 Depth=3
	s_or_b32 exec_lo, exec_lo, s24
	v_cmp_eq_u32_e32 vcc_lo, 0, v2
	v_lshlrev_b64 v[36:37], 3, v[36:37]
	v_and_b32_e32 v9, 0x2000, v85
	s_mov_b32 s16, exec_lo
	v_cndmask_b32_e32 v2, 0xc8, v99, vcc_lo
	v_add_co_u32 v36, vcc_lo, v22, v36
	v_add_co_ci_u32_e64 v37, null, v23, v37, vcc_lo
	v_add_nc_u32_e32 v2, v0, v2
	ds_write_b64 v2, v[36:37] offset:584
	v_cmpx_ne_u32_e32 0, v9
	s_cbranch_execz .LBB4_303
; %bb.302:                              ;   in Loop: Header=BB4_276 Depth=3
	ds_read_b64 v[36:37], v0 offset:872
	s_waitcnt lgkmcnt(0)
	v_add_co_u32 v36, vcc_lo, v36, 1
	v_add_co_ci_u32_e64 v37, null, 0, v37, vcc_lo
	ds_write_b64 v0, v[36:37] offset:872
.LBB4_303:                              ;   in Loop: Header=BB4_276 Depth=3
	s_or_b32 exec_lo, exec_lo, s16
	v_mov_b32_e32 v36, v52
	v_mov_b32_e32 v37, v53
.LBB4_304:                              ;   in Loop: Header=BB4_276 Depth=3
	s_or_b32 exec_lo, exec_lo, s17
	s_and_saveexec_b32 s16, s6
	s_cbranch_execz .LBB4_323
; %bb.305:                              ;   in Loop: Header=BB4_276 Depth=3
	s_and_saveexec_b32 s17, s42
	s_xor_b32 s17, exec_lo, s17
	s_cbranch_execz .LBB4_320
; %bb.306:                              ;   in Loop: Header=BB4_276 Depth=3
	s_and_saveexec_b32 s24, s11
	s_cbranch_execz .LBB4_319
; %bb.307:                              ;   in Loop: Header=BB4_276 Depth=3
	s_mov_b32 s73, exec_lo
	s_mov_b32 s27, exec_lo
	v_mbcnt_lo_u32_b32 v2, s73, 0
	s_waitcnt vmcnt(0) lgkmcnt(0)
	s_waitcnt_vscnt null, 0x0
	buffer_gl1_inv
	buffer_gl0_inv
	v_cmpx_eq_u32_e32 0, v2
	s_cbranch_execz .LBB4_309
; %bb.308:                              ;   in Loop: Header=BB4_276 Depth=3
	s_bcnt1_i32_b32 s73, s73
	v_mov_b32_e32 v2, s73
	ds_add_u64 v0, v[2:3]
	s_trap 2
.LBB4_309:                              ;   in Loop: Header=BB4_276 Depth=3
	s_or_b32 exec_lo, exec_lo, s27
	s_trap 2
	ds_read_b64 v[52:53], v0
	s_waitcnt lgkmcnt(0)
	buffer_gl0_inv
	v_add_co_u32 v12, vcc_lo, v12, v87
	v_add_co_ci_u32_e64 v13, null, 0, v13, vcc_lo
	s_mov_b32 s27, exec_lo
	v_cmpx_lt_u64_e64 v[52:53], v[12:13]
	s_cbranch_execz .LBB4_318
; %bb.310:                              ;   in Loop: Header=BB4_276 Depth=3
	s_mov_b32 s73, 0
	s_mov_b32 s76, 0
                                        ; implicit-def: $sgpr74
                                        ; implicit-def: $sgpr75
	s_inst_prefetch 0x1
	s_branch .LBB4_312
	.p2align	6
.LBB4_311:                              ;   in Loop: Header=BB4_312 Depth=4
	s_or_b32 exec_lo, exec_lo, s78
	s_and_b32 s77, exec_lo, s79
	s_or_b32 s73, s77, s73
	s_andn2_b32 s74, s74, exec_lo
	s_and_b32 s77, s75, exec_lo
	s_or_b32 s74, s74, s77
	s_andn2_b32 exec_lo, exec_lo, s73
	s_cbranch_execz .LBB4_316
.LBB4_312:                              ;   Parent Loop BB4_47 Depth=1
                                        ;     Parent Loop BB4_273 Depth=2
                                        ;       Parent Loop BB4_276 Depth=3
                                        ; =>      This Inner Loop Header: Depth=4
	s_add_i32 s76, s76, 1
	s_cmpk_lg_i32 s76, 0x2710
	s_cselect_b32 s77, -1, 0
	s_and_b32 vcc_lo, exec_lo, s77
	s_cbranch_vccz .LBB4_314
; %bb.313:                              ;   in Loop: Header=BB4_312 Depth=4
	s_mov_b32 s79, -1
	s_or_b32 s75, s75, exec_lo
	s_and_saveexec_b32 s78, s77
	s_cbranch_execz .LBB4_311
	s_branch .LBB4_315
	.p2align	6
.LBB4_314:                              ;   in Loop: Header=BB4_312 Depth=4
	s_trap 2
	ds_read_b64 v[52:53], v0
	s_andn2_b32 s77, s77, exec_lo
	s_mov_b32 s76, 0
	s_waitcnt lgkmcnt(0)
	flat_load_dword v2, v[52:53] glc dlc
	s_waitcnt vmcnt(0) lgkmcnt(0)
	buffer_gl1_inv
	buffer_gl0_inv
	v_cmp_eq_u32_e32 vcc_lo, 0, v2
	s_and_b32 s78, vcc_lo, exec_lo
	s_or_b32 s77, s77, s78
	s_mov_b32 s79, -1
	s_or_b32 s75, s75, exec_lo
	s_and_saveexec_b32 s78, s77
	s_cbranch_execz .LBB4_311
.LBB4_315:                              ;   in Loop: Header=BB4_312 Depth=4
	s_sleep 1
	s_trap 2
	ds_read_b64 v[52:53], v0
	s_waitcnt lgkmcnt(0)
	buffer_gl0_inv
	s_andn2_b32 s75, s75, exec_lo
	v_cmp_ge_u64_e32 vcc_lo, v[52:53], v[12:13]
	s_orn2_b32 s79, vcc_lo, exec_lo
	s_branch .LBB4_311
.LBB4_316:                              ;   in Loop: Header=BB4_276 Depth=3
	s_inst_prefetch 0x2
	s_or_b32 exec_lo, exec_lo, s73
	s_and_saveexec_b32 s73, s74
	s_xor_b32 s73, exec_lo, s73
	s_cbranch_execz .LBB4_318
; %bb.317:                              ;   in Loop: Header=BB4_276 Depth=3
	ds_write_b32 v0, v98
	s_trap 2
.LBB4_318:                              ;   in Loop: Header=BB4_276 Depth=3
	s_or_b32 exec_lo, exec_lo, s27
	;;#ASMSTART
	s_wakeup
	;;#ASMEND
.LBB4_319:                              ;   in Loop: Header=BB4_276 Depth=3
	s_or_b32 exec_lo, exec_lo, s24
.LBB4_320:                              ;   in Loop: Header=BB4_276 Depth=3
	s_andn2_saveexec_b32 s17, s17
	s_cbranch_execz .LBB4_322
; %bb.321:                              ;   in Loop: Header=BB4_276 Depth=3
	s_waitcnt vmcnt(0) lgkmcnt(0)
	s_waitcnt_vscnt null, 0x0
	buffer_gl1_inv
	buffer_gl0_inv
	s_barrier
.LBB4_322:                              ;   in Loop: Header=BB4_276 Depth=3
	s_or_b32 exec_lo, exec_lo, s17
.LBB4_323:                              ;   in Loop: Header=BB4_276 Depth=3
	s_or_b32 exec_lo, exec_lo, s16
	s_trap 2
	ds_read_b32 v9, v0
	v_and_b32_e32 v2, 0x4000, v85
	s_xor_b32 s16, s5, -1
	v_cmp_ne_u32_e32 vcc_lo, 0, v2
	s_and_b32 s17, s16, vcc_lo
	s_and_saveexec_b32 s16, s17
	s_cbranch_execz .LBB4_342
; %bb.324:                              ;   in Loop: Header=BB4_276 Depth=3
	s_and_saveexec_b32 s17, s42
	s_xor_b32 s17, exec_lo, s17
	s_cbranch_execz .LBB4_339
; %bb.325:                              ;   in Loop: Header=BB4_276 Depth=3
	s_and_saveexec_b32 s24, s11
	s_cbranch_execz .LBB4_338
; %bb.326:                              ;   in Loop: Header=BB4_276 Depth=3
	s_mov_b32 s73, exec_lo
	s_mov_b32 s27, exec_lo
	v_mbcnt_lo_u32_b32 v2, s73, 0
	s_waitcnt vmcnt(0) lgkmcnt(0)
	s_waitcnt_vscnt null, 0x0
	buffer_gl1_inv
	buffer_gl0_inv
	v_cmpx_eq_u32_e32 0, v2
	s_cbranch_execz .LBB4_328
; %bb.327:                              ;   in Loop: Header=BB4_276 Depth=3
	s_bcnt1_i32_b32 s73, s73
	v_mov_b32_e32 v2, s73
	ds_add_u64 v0, v[2:3]
	s_trap 2
.LBB4_328:                              ;   in Loop: Header=BB4_276 Depth=3
	s_or_b32 exec_lo, exec_lo, s27
	s_trap 2
	ds_read_b64 v[52:53], v0
	s_waitcnt lgkmcnt(0)
	buffer_gl0_inv
	v_add_co_u32 v12, vcc_lo, v12, v87
	v_add_co_ci_u32_e64 v13, null, 0, v13, vcc_lo
	s_mov_b32 s27, exec_lo
	v_cmpx_lt_u64_e64 v[52:53], v[12:13]
	s_cbranch_execz .LBB4_337
; %bb.329:                              ;   in Loop: Header=BB4_276 Depth=3
	s_mov_b32 s73, 0
	s_mov_b32 s76, 0
                                        ; implicit-def: $sgpr74
                                        ; implicit-def: $sgpr75
	s_inst_prefetch 0x1
	s_branch .LBB4_331
	.p2align	6
.LBB4_330:                              ;   in Loop: Header=BB4_331 Depth=4
	s_or_b32 exec_lo, exec_lo, s78
	s_and_b32 s77, exec_lo, s79
	s_or_b32 s73, s77, s73
	s_andn2_b32 s74, s74, exec_lo
	s_and_b32 s77, s75, exec_lo
	s_or_b32 s74, s74, s77
	s_andn2_b32 exec_lo, exec_lo, s73
	s_cbranch_execz .LBB4_335
.LBB4_331:                              ;   Parent Loop BB4_47 Depth=1
                                        ;     Parent Loop BB4_273 Depth=2
                                        ;       Parent Loop BB4_276 Depth=3
                                        ; =>      This Inner Loop Header: Depth=4
	s_add_i32 s76, s76, 1
	s_cmpk_lg_i32 s76, 0x2710
	s_cselect_b32 s77, -1, 0
	s_and_b32 vcc_lo, exec_lo, s77
	s_cbranch_vccz .LBB4_333
; %bb.332:                              ;   in Loop: Header=BB4_331 Depth=4
	s_mov_b32 s79, -1
	s_or_b32 s75, s75, exec_lo
	s_and_saveexec_b32 s78, s77
	s_cbranch_execz .LBB4_330
	s_branch .LBB4_334
	.p2align	6
.LBB4_333:                              ;   in Loop: Header=BB4_331 Depth=4
	s_trap 2
	ds_read_b64 v[52:53], v0
	s_andn2_b32 s77, s77, exec_lo
	s_mov_b32 s76, 0
	s_waitcnt lgkmcnt(0)
	flat_load_dword v2, v[52:53] glc dlc
	s_waitcnt vmcnt(0) lgkmcnt(0)
	buffer_gl1_inv
	buffer_gl0_inv
	v_cmp_eq_u32_e32 vcc_lo, 0, v2
	s_and_b32 s78, vcc_lo, exec_lo
	s_or_b32 s77, s77, s78
	s_mov_b32 s79, -1
	s_or_b32 s75, s75, exec_lo
	s_and_saveexec_b32 s78, s77
	s_cbranch_execz .LBB4_330
.LBB4_334:                              ;   in Loop: Header=BB4_331 Depth=4
	s_sleep 1
	s_trap 2
	ds_read_b64 v[52:53], v0
	s_waitcnt lgkmcnt(0)
	buffer_gl0_inv
	s_andn2_b32 s75, s75, exec_lo
	v_cmp_ge_u64_e32 vcc_lo, v[52:53], v[12:13]
	s_orn2_b32 s79, vcc_lo, exec_lo
	s_branch .LBB4_330
.LBB4_335:                              ;   in Loop: Header=BB4_276 Depth=3
	s_inst_prefetch 0x2
	s_or_b32 exec_lo, exec_lo, s73
	s_and_saveexec_b32 s73, s74
	s_xor_b32 s73, exec_lo, s73
	s_cbranch_execz .LBB4_337
; %bb.336:                              ;   in Loop: Header=BB4_276 Depth=3
	ds_write_b32 v0, v98
	s_trap 2
.LBB4_337:                              ;   in Loop: Header=BB4_276 Depth=3
	s_or_b32 exec_lo, exec_lo, s27
	;;#ASMSTART
	s_wakeup
	;;#ASMEND
.LBB4_338:                              ;   in Loop: Header=BB4_276 Depth=3
	s_or_b32 exec_lo, exec_lo, s24
.LBB4_339:                              ;   in Loop: Header=BB4_276 Depth=3
	s_andn2_saveexec_b32 s17, s17
	s_cbranch_execz .LBB4_341
; %bb.340:                              ;   in Loop: Header=BB4_276 Depth=3
	s_waitcnt vmcnt(0) lgkmcnt(0)
	s_waitcnt_vscnt null, 0x0
	buffer_gl1_inv
	buffer_gl0_inv
	s_barrier
.LBB4_341:                              ;   in Loop: Header=BB4_276 Depth=3
	s_or_b32 exec_lo, exec_lo, s17
.LBB4_342:                              ;   in Loop: Header=BB4_276 Depth=3
	s_or_b32 exec_lo, exec_lo, s16
	s_trap 2
	ds_read_b64 v[52:53], v0
	s_waitcnt lgkmcnt(0)
	v_cmp_eq_u64_e32 vcc_lo, 0, v[52:53]
	s_cbranch_vccnz .LBB4_350
; %bb.343:                              ;   in Loop: Header=BB4_276 Depth=3
	s_trap 2
	ds_read_b64 v[54:55], v0
	s_waitcnt lgkmcnt(0)
	v_cmp_eq_u64_e32 vcc_lo, 0, v[54:55]
	s_cbranch_vccnz .LBB4_350
; %bb.344:                              ;   in Loop: Header=BB4_276 Depth=3
	s_mov_b32 s16, -1
	s_and_saveexec_b32 s17, s14
	s_cbranch_execz .LBB4_346
; %bb.345:                              ;   in Loop: Header=BB4_276 Depth=3
	ds_read_b32 v2, v0 offset:720
	s_waitcnt lgkmcnt(0)
	v_and_b32_e32 v2, 15, v2
	v_cmp_eq_u32_e32 vcc_lo, 0, v2
	s_orn2_b32 s16, vcc_lo, exec_lo
.LBB4_346:                              ;   in Loop: Header=BB4_276 Depth=3
	s_or_b32 exec_lo, exec_lo, s17
	s_and_saveexec_b32 s17, s13
	s_cbranch_execz .LBB4_348
; %bb.347:                              ;   in Loop: Header=BB4_276 Depth=3
	ds_read_b32 v2, v0 offset:784
	s_waitcnt lgkmcnt(0)
	v_and_b32_e32 v2, 15, v2
	v_cmp_eq_u32_e32 vcc_lo, 0, v2
	s_and_b32 s24, s16, vcc_lo
	s_andn2_b32 s16, s16, exec_lo
	s_and_b32 s24, s24, exec_lo
	s_or_b32 s16, s16, s24
.LBB4_348:                              ;   in Loop: Header=BB4_276 Depth=3
	s_or_b32 exec_lo, exec_lo, s17
	v_cmp_eq_u32_e32 vcc_lo, 0, v9
	s_xor_b32 s16, s16, -1
	v_cndmask_b32_e64 v11, 0, 1, s16
	s_mov_b32 s16, -1
	v_cndmask_b32_e32 v2, 0, v8, vcc_lo
	v_cmp_ne_u32_e32 vcc_lo, 0, v11
	v_mov_b32_e32 v11, 0
	v_lshlrev_b32_e32 v9, 3, v2
	s_cbranch_vccz .LBB4_355
; %bb.349:                              ;   in Loop: Header=BB4_276 Depth=3
	v_mov_b32_e32 v64, v0
	v_mov_b32_e32 v71, v96
	s_and_saveexec_b32 s17, s16
	s_cbranch_execnz .LBB4_368
	s_branch .LBB4_376
.LBB4_350:                              ;   in Loop: Header=BB4_276 Depth=3
	s_mov_b32 s16, 0
	s_and_saveexec_b32 s17, s6
	s_cbranch_execnz .LBB4_377
.LBB4_351:                              ;   in Loop: Header=BB4_276 Depth=3
	s_or_b32 exec_lo, exec_lo, s17
                                        ; implicit-def: $vgpr2
	s_and_saveexec_b32 s17, s15
	s_xor_b32 s17, exec_lo, s17
	s_cbranch_execz .LBB4_395
.LBB4_352:                              ;   in Loop: Header=BB4_276 Depth=3
	v_and_b32_e32 v2, 16, v85
	v_cmp_ne_u32_e32 vcc_lo, 0, v2
	v_and_b32_e32 v2, 16, v85
	s_and_b32 s24, vcc_lo, s16
	s_and_saveexec_b32 s16, s24
	s_cbranch_execz .LBB4_354
; %bb.353:                              ;   in Loop: Header=BB4_276 Depth=3
	v_mov_b32_e32 v2, 1
	s_waitcnt vmcnt(0) lgkmcnt(0)
	s_waitcnt_vscnt null, 0x0
	buffer_gl1_inv
	buffer_gl0_inv
.LBB4_354:                              ;   in Loop: Header=BB4_276 Depth=3
	s_or_b32 exec_lo, exec_lo, s16
	s_andn2_saveexec_b32 s16, s17
	s_cbranch_execz .LBB4_414
	s_branch .LBB4_396
.LBB4_355:                              ;   in Loop: Header=BB4_276 Depth=3
	v_ashrrev_i32_e32 v11, 31, v9
	s_mov_b32 s17, exec_lo
	v_lshrrev_b32_e32 v11, 22, v11
	v_add_nc_u32_e32 v11, v9, v11
	v_ashrrev_i32_e32 v11, 10, v11
	v_sub_nc_u32_e32 v81, v11, v97
	v_cmpx_lt_i32_e32 0, v81
	s_cbranch_execz .LBB4_359
; %bb.356:                              ;   in Loop: Header=BB4_276 Depth=3
	s_trap 2
	ds_read_b64 v[66:67], v0
	v_add_co_u32 v64, vcc_lo, v52, v113
	v_add_co_ci_u32_e64 v65, null, 0, v53, vcc_lo
	s_mov_b32 s24, 0
	s_waitcnt lgkmcnt(0)
	v_add_co_u32 v66, vcc_lo, v66, v113
	v_add_co_ci_u32_e64 v67, null, 0, v67, vcc_lo
	v_add_co_u32 v68, vcc_lo, v54, v113
	v_add_co_ci_u32_e64 v69, null, 0, v55, vcc_lo
	s_inst_prefetch 0x1
	.p2align	6
.LBB4_357:                              ;   Parent Loop BB4_47 Depth=1
                                        ;     Parent Loop BB4_273 Depth=2
                                        ;       Parent Loop BB4_276 Depth=3
                                        ; =>      This Inner Loop Header: Depth=4
	global_load_dwordx4 v[43:46], v[66:67], off slc
	s_clause 0x1
	global_load_dwordx4 v[56:59], v[64:65], off slc
	global_load_dwordx4 v[60:63], v[64:65], off offset:512 slc
	global_load_dwordx4 v[71:74], v[66:67], off offset:512 slc
	v_sub_nc_u32_e32 v81, v81, v87
	v_add_co_u32 v64, vcc_lo, v64, v112
	v_add_co_ci_u32_e64 v65, null, 0, v65, vcc_lo
	v_add_co_u32 v66, vcc_lo, v66, v112
	v_add_co_ci_u32_e64 v67, null, 0, v67, vcc_lo
	v_cmp_gt_i32_e32 vcc_lo, 1, v81
	s_or_b32 s24, vcc_lo, s24
	s_waitcnt vmcnt(2)
	v_add_co_u32 v43, s16, v43, v56
	v_add_co_ci_u32_e64 v44, null, v44, v57, s16
	v_add_co_u32 v45, s16, v45, v58
	v_add_co_ci_u32_e64 v46, null, v46, v59, s16
	s_waitcnt vmcnt(0)
	v_add_co_u32 v56, s16, v71, v60
	v_add_co_ci_u32_e64 v57, null, v72, v61, s16
	v_add_co_u32 v58, s16, v73, v62
	v_add_co_ci_u32_e64 v59, null, v74, v63, s16
	global_store_dwordx4 v[68:69], v[43:46], off glc slc
	global_store_dwordx4 v[68:69], v[56:59], off offset:512 glc slc
	v_add_co_u32 v68, s16, v68, v112
	v_add_co_ci_u32_e64 v69, null, 0, v69, s16
	s_andn2_b32 exec_lo, exec_lo, s24
	s_cbranch_execnz .LBB4_357
; %bb.358:                              ;   in Loop: Header=BB4_276 Depth=3
	s_inst_prefetch 0x2
	s_or_b32 exec_lo, exec_lo, s24
.LBB4_359:                              ;   in Loop: Header=BB4_276 Depth=3
	s_or_b32 exec_lo, exec_lo, s17
	v_lshlrev_b32_e32 v80, 10, v11
	v_mov_b32_e32 v11, 0
	s_mov_b32 s16, 0
	s_mov_b32 s24, exec_lo
                                        ; implicit-def: $vgpr64
                                        ; implicit-def: $vgpr71
	v_cmpx_ne_u32_e64 v9, v80
	s_cbranch_execz .LBB4_367
; %bb.360:                              ;   in Loop: Header=BB4_276 Depth=3
	v_lshlrev_b32_e32 v11, 5, v81
	v_sub_nc_u32_e32 v65, v9, v80
	s_mov_b32 s27, exec_lo
	v_sub_nc_u32_e32 v11, v96, v11
	v_ashrrev_i32_e32 v66, 31, v65
	v_ashrrev_i32_e32 v64, 31, v11
	v_lshrrev_b32_e32 v66, 23, v66
	v_lshrrev_b32_e32 v64, 27, v64
	v_add_nc_u32_e32 v66, v65, v66
	v_add_nc_u32_e32 v64, v11, v64
	v_and_b32_e32 v81, 0xfffffe00, v66
	v_ashrrev_i32_e32 v66, 9, v66
	v_and_b32_e32 v67, 0xffffffe0, v64
	v_sub_nc_u32_e32 v83, v65, v81
	v_sub_nc_u32_e32 v82, v11, v67
	v_ashrrev_i32_e32 v67, 5, v64
	v_cmp_lt_i32_e32 vcc_lo, 15, v83
	v_lshlrev_b32_e32 v11, 4, v82
	v_add_co_ci_u32_e64 v66, null, 0, v66, vcc_lo
	v_lshl_add_u32 v64, v67, 9, v11
	v_sub_nc_u32_e32 v43, v66, v67
	v_sub_nc_u32_e32 v11, v65, v64
	v_cmpx_lt_i32_e32 15, v11
	s_cbranch_execz .LBB4_364
; %bb.361:                              ;   in Loop: Header=BB4_276 Depth=3
	s_trap 2
	ds_read_b64 v[66:67], v0
	v_add_nc_u32_e32 v68, v64, v80
	s_mov_b32 s73, 0
	v_ashrrev_i32_e32 v69, 31, v68
	v_add_co_u32 v64, s16, v68, v52
	v_add_co_ci_u32_e64 v65, null, v69, v53, s16
	s_waitcnt lgkmcnt(0)
	v_add_co_u32 v66, s16, v66, v68
	v_add_co_ci_u32_e64 v67, null, v67, v69, s16
	v_add_co_u32 v68, s16, v68, v54
	v_add_co_ci_u32_e64 v69, null, v69, v55, s16
	s_inst_prefetch 0x1
	.p2align	6
.LBB4_362:                              ;   Parent Loop BB4_47 Depth=1
                                        ;     Parent Loop BB4_273 Depth=2
                                        ;       Parent Loop BB4_276 Depth=3
                                        ; =>      This Inner Loop Header: Depth=4
	global_load_dwordx4 v[44:47], v[64:65], off slc
	global_load_dwordx4 v[56:59], v[66:67], off slc
	v_sub_nc_u32_e32 v11, v11, v102
	v_add_co_u32 v64, s16, v64, v102
	v_add_co_ci_u32_e64 v65, null, 0, v65, s16
	v_add_co_u32 v66, s16, v66, v102
	v_add_co_ci_u32_e64 v67, null, 0, v67, s16
	v_cmp_gt_i32_e64 s16, 16, v11
	v_sub_nc_u32_e32 v43, v43, v87
	s_or_b32 s73, s16, s73
	s_waitcnt vmcnt(0)
	v_add_co_u32 v44, s17, v56, v44
	v_add_co_ci_u32_e64 v45, null, v57, v45, s17
	v_add_co_u32 v46, s17, v58, v46
	v_add_co_ci_u32_e64 v47, null, v59, v47, s17
	global_store_dwordx4 v[68:69], v[44:47], off glc slc
	v_add_co_u32 v68, s17, v68, v102
	v_add_co_ci_u32_e64 v69, null, 0, v69, s17
	s_andn2_b32 exec_lo, exec_lo, s73
	s_cbranch_execnz .LBB4_362
; %bb.363:                              ;   in Loop: Header=BB4_276 Depth=3
	s_inst_prefetch 0x2
	s_or_b32 exec_lo, exec_lo, s73
.LBB4_364:                              ;   in Loop: Header=BB4_276 Depth=3
	s_or_b32 exec_lo, exec_lo, s27
	v_and_b32_e32 v65, 8, v9
	v_mov_b32_e32 v11, 0
	s_mov_b32 s17, 0
	s_mov_b32 s27, exec_lo
                                        ; implicit-def: $vgpr64
                                        ; implicit-def: $vgpr71
	v_cndmask_b32_e32 v9, v83, v65, vcc_lo
	v_cmpx_ne_u32_e32 0, v9
	s_cbranch_execz .LBB4_366
; %bb.365:                              ;   in Loop: Header=BB4_276 Depth=3
	v_cmp_lt_i32_e64 s16, 0, v43
	v_sub_nc_u32_e32 v65, v83, v65
	s_mov_b32 s17, exec_lo
	v_cndmask_b32_e64 v11, 0, v87, s16
	v_cndmask_b32_e32 v65, 0, v65, vcc_lo
	v_sub_nc_u32_e32 v11, v11, v43
	v_lshl_add_u32 v64, v11, 5, v82
	v_ashrrev_i32_e32 v11, 31, v64
	v_lshrrev_b32_e32 v11, 27, v11
	v_add_nc_u32_e32 v11, v64, v11
	v_and_b32_e32 v66, 0xffffffe0, v11
	v_add3_u32 v11, v81, v80, v65
	v_sub_nc_u32_e32 v71, v64, v66
.LBB4_366:                              ;   in Loop: Header=BB4_276 Depth=3
	s_or_b32 exec_lo, exec_lo, s27
	s_and_b32 s16, s17, exec_lo
.LBB4_367:                              ;   in Loop: Header=BB4_276 Depth=3
	s_or_b32 exec_lo, exec_lo, s24
	s_and_saveexec_b32 s17, s16
	s_cbranch_execz .LBB4_376
.LBB4_368:                              ;   in Loop: Header=BB4_276 Depth=3
	v_ashrrev_i32_e32 v65, 31, v64
	v_ashrrev_i32_e32 v66, 31, v9
	s_mov_b32 s24, exec_lo
	v_lshrrev_b32_e32 v65, 27, v65
	v_lshrrev_b32_e32 v66, 23, v66
	v_add_nc_u32_e32 v64, v64, v65
	v_add_nc_u32_e32 v65, v9, v66
	v_ashrrev_i32_e32 v64, 5, v64
	v_ashrrev_i32_e32 v81, 9, v65
	v_sub_nc_u32_e32 v80, v81, v64
	v_cmpx_lt_i32_e32 0, v80
	s_cbranch_execz .LBB4_372
; %bb.369:                              ;   in Loop: Header=BB4_276 Depth=3
	s_trap 2
	ds_read_b64 v[66:67], v0
	v_lshlrev_b32_e32 v65, 3, v71
	v_lshlrev_b32_e32 v64, 9, v64
	s_mov_b32 s27, 0
	v_add3_u32 v68, v11, v65, v64
	v_ashrrev_i32_e32 v69, 31, v68
	v_add_co_u32 v64, vcc_lo, v68, v52
	v_add_co_ci_u32_e64 v65, null, v69, v53, vcc_lo
	s_waitcnt lgkmcnt(0)
	v_add_co_u32 v66, vcc_lo, v66, v68
	v_add_co_ci_u32_e64 v67, null, v67, v69, vcc_lo
	v_add_co_u32 v68, vcc_lo, v68, v54
	v_add_co_ci_u32_e64 v69, null, v69, v55, vcc_lo
	s_inst_prefetch 0x1
	.p2align	6
.LBB4_370:                              ;   Parent Loop BB4_47 Depth=1
                                        ;     Parent Loop BB4_273 Depth=2
                                        ;       Parent Loop BB4_276 Depth=3
                                        ; =>      This Inner Loop Header: Depth=4
	flat_load_dwordx2 v[82:83], v[66:67] slc
	s_clause 0x1
	flat_load_dwordx2 v[43:44], v[64:65] slc
	flat_load_dwordx2 v[45:46], v[64:65] offset:256 slc
	flat_load_dwordx2 v[56:57], v[66:67] offset:256 slc
	v_sub_nc_u32_e32 v80, v80, v87
	v_add_co_u32 v64, vcc_lo, v64, v102
	v_add_co_ci_u32_e64 v65, null, 0, v65, vcc_lo
	v_add_co_u32 v66, vcc_lo, v66, v102
	v_add_co_ci_u32_e64 v67, null, 0, v67, vcc_lo
	v_cmp_gt_i32_e32 vcc_lo, 1, v80
	s_or_b32 s27, vcc_lo, s27
	s_waitcnt vmcnt(2) lgkmcnt(2)
	v_add_co_u32 v82, s16, v82, v43
	v_add_co_ci_u32_e64 v83, null, v83, v44, s16
	s_waitcnt vmcnt(0) lgkmcnt(0)
	v_add_co_u32 v43, s16, v56, v45
	v_add_co_ci_u32_e64 v44, null, v57, v46, s16
	flat_store_dwordx2 v[68:69], v[82:83] glc slc
	flat_store_dwordx2 v[68:69], v[43:44] offset:256 glc slc
	v_add_co_u32 v68, s16, v68, v102
	v_add_co_ci_u32_e64 v69, null, 0, v69, s16
	s_andn2_b32 exec_lo, exec_lo, s27
	s_cbranch_execnz .LBB4_370
; %bb.371:                              ;   in Loop: Header=BB4_276 Depth=3
	s_inst_prefetch 0x2
	s_or_b32 exec_lo, exec_lo, s27
.LBB4_372:                              ;   in Loop: Header=BB4_276 Depth=3
	s_or_b32 exec_lo, exec_lo, s24
	v_lshlrev_b32_e32 v64, 9, v81
	v_cmp_ne_u32_e32 vcc_lo, v9, v64
	s_and_b32 exec_lo, exec_lo, vcc_lo
	s_cbranch_execz .LBB4_376
; %bb.373:                              ;   in Loop: Header=BB4_276 Depth=3
	v_lshlrev_b32_e32 v65, 5, v80
	v_sub_nc_u32_e32 v65, v71, v65
	v_ashrrev_i32_e32 v66, 31, v65
	v_lshrrev_b32_e32 v66, 27, v66
	v_add_nc_u32_e32 v66, v65, v66
	v_and_b32_e32 v67, 0x1fffffe0, v66
	v_lshlrev_b32_e32 v66, 3, v66
	v_sub_nc_u32_e32 v65, v65, v67
	v_and_b32_e32 v66, 0xffffff00, v66
	v_lshlrev_b32_e32 v65, 3, v65
	v_add3_u32 v64, v66, v65, v64
	v_sub_nc_u32_e32 v9, v9, v64
	v_cmp_lt_i32_e32 vcc_lo, 7, v9
	s_and_b32 exec_lo, exec_lo, vcc_lo
	s_cbranch_execz .LBB4_376
; %bb.374:                              ;   in Loop: Header=BB4_276 Depth=3
	s_trap 2
	ds_read_b64 v[65:66], v0
	v_add_nc_u32_e32 v11, v64, v11
	s_mov_b32 s24, 0
	v_ashrrev_i32_e32 v67, 31, v11
	v_add_co_u32 v52, vcc_lo, v11, v52
	v_add_co_ci_u32_e64 v53, null, v67, v53, vcc_lo
	s_waitcnt lgkmcnt(0)
	v_add_co_u32 v64, vcc_lo, v65, v11
	v_add_co_ci_u32_e64 v65, null, v66, v67, vcc_lo
	v_add_co_u32 v54, vcc_lo, v11, v54
	v_add_co_ci_u32_e64 v55, null, v67, v55, vcc_lo
	.p2align	6
.LBB4_375:                              ;   Parent Loop BB4_47 Depth=1
                                        ;     Parent Loop BB4_273 Depth=2
                                        ;       Parent Loop BB4_276 Depth=3
                                        ; =>      This Inner Loop Header: Depth=4
	flat_load_dwordx2 v[66:67], v[52:53] slc
	flat_load_dwordx2 v[68:69], v[64:65] slc
	v_sub_nc_u32_e32 v9, v9, v103
	v_add_co_u32 v52, vcc_lo, v52, v103
	v_add_co_ci_u32_e64 v53, null, 0, v53, vcc_lo
	v_add_co_u32 v64, vcc_lo, v64, v103
	v_add_co_ci_u32_e64 v65, null, 0, v65, vcc_lo
	v_cmp_gt_i32_e32 vcc_lo, 8, v9
	s_or_b32 s24, vcc_lo, s24
	s_waitcnt vmcnt(0) lgkmcnt(0)
	v_add_co_u32 v66, s16, v68, v66
	v_add_co_ci_u32_e64 v67, null, v69, v67, s16
	flat_store_dwordx2 v[54:55], v[66:67] glc slc
	v_add_co_u32 v54, s16, v54, v103
	v_add_co_ci_u32_e64 v55, null, 0, v55, s16
	s_andn2_b32 exec_lo, exec_lo, s24
	s_cbranch_execnz .LBB4_375
.LBB4_376:                              ;   in Loop: Header=BB4_276 Depth=3
	s_or_b32 exec_lo, exec_lo, s17
	v_cmp_lt_i32_e64 s16, 0, v2
	s_and_saveexec_b32 s17, s6
	s_cbranch_execz .LBB4_351
.LBB4_377:                              ;   in Loop: Header=BB4_276 Depth=3
	s_and_saveexec_b32 s24, s42
	s_xor_b32 s24, exec_lo, s24
	s_cbranch_execz .LBB4_392
; %bb.378:                              ;   in Loop: Header=BB4_276 Depth=3
	s_and_saveexec_b32 s27, s11
	s_cbranch_execz .LBB4_391
; %bb.379:                              ;   in Loop: Header=BB4_276 Depth=3
	s_mov_b32 s74, exec_lo
	s_mov_b32 s73, exec_lo
	v_mbcnt_lo_u32_b32 v2, s74, 0
	s_waitcnt vmcnt(0) lgkmcnt(0)
	s_waitcnt_vscnt null, 0x0
	buffer_gl1_inv
	buffer_gl0_inv
	v_cmpx_eq_u32_e32 0, v2
	s_cbranch_execz .LBB4_381
; %bb.380:                              ;   in Loop: Header=BB4_276 Depth=3
	s_bcnt1_i32_b32 s74, s74
	v_mov_b32_e32 v2, s74
	ds_add_u64 v0, v[2:3]
	s_trap 2
.LBB4_381:                              ;   in Loop: Header=BB4_276 Depth=3
	s_or_b32 exec_lo, exec_lo, s73
	s_trap 2
	ds_read_b64 v[52:53], v0
	s_waitcnt lgkmcnt(0)
	buffer_gl0_inv
	v_add_co_u32 v12, vcc_lo, v12, v87
	v_add_co_ci_u32_e64 v13, null, 0, v13, vcc_lo
	s_mov_b32 s73, exec_lo
	v_cmpx_lt_u64_e64 v[52:53], v[12:13]
	s_cbranch_execz .LBB4_390
; %bb.382:                              ;   in Loop: Header=BB4_276 Depth=3
	s_mov_b32 s74, 0
	s_mov_b32 s77, 0
                                        ; implicit-def: $sgpr75
                                        ; implicit-def: $sgpr76
	s_inst_prefetch 0x1
	s_branch .LBB4_384
	.p2align	6
.LBB4_383:                              ;   in Loop: Header=BB4_384 Depth=4
	s_or_b32 exec_lo, exec_lo, s79
	s_and_b32 s78, exec_lo, s88
	s_or_b32 s74, s78, s74
	s_andn2_b32 s75, s75, exec_lo
	s_and_b32 s78, s76, exec_lo
	s_or_b32 s75, s75, s78
	s_andn2_b32 exec_lo, exec_lo, s74
	s_cbranch_execz .LBB4_388
.LBB4_384:                              ;   Parent Loop BB4_47 Depth=1
                                        ;     Parent Loop BB4_273 Depth=2
                                        ;       Parent Loop BB4_276 Depth=3
                                        ; =>      This Inner Loop Header: Depth=4
	s_add_i32 s77, s77, 1
	s_cmpk_lg_i32 s77, 0x2710
	s_cselect_b32 s78, -1, 0
	s_and_b32 vcc_lo, exec_lo, s78
	s_cbranch_vccz .LBB4_386
; %bb.385:                              ;   in Loop: Header=BB4_384 Depth=4
	s_mov_b32 s88, -1
	s_or_b32 s76, s76, exec_lo
	s_and_saveexec_b32 s79, s78
	s_cbranch_execz .LBB4_383
	s_branch .LBB4_387
	.p2align	6
.LBB4_386:                              ;   in Loop: Header=BB4_384 Depth=4
	s_trap 2
	ds_read_b64 v[52:53], v0
	s_andn2_b32 s78, s78, exec_lo
	s_mov_b32 s77, 0
	s_waitcnt lgkmcnt(0)
	flat_load_dword v2, v[52:53] glc dlc
	s_waitcnt vmcnt(0) lgkmcnt(0)
	buffer_gl1_inv
	buffer_gl0_inv
	v_cmp_eq_u32_e32 vcc_lo, 0, v2
	s_and_b32 s79, vcc_lo, exec_lo
	s_or_b32 s78, s78, s79
	s_mov_b32 s88, -1
	s_or_b32 s76, s76, exec_lo
	s_and_saveexec_b32 s79, s78
	s_cbranch_execz .LBB4_383
.LBB4_387:                              ;   in Loop: Header=BB4_384 Depth=4
	s_sleep 1
	s_trap 2
	ds_read_b64 v[52:53], v0
	s_waitcnt lgkmcnt(0)
	buffer_gl0_inv
	s_andn2_b32 s76, s76, exec_lo
	v_cmp_ge_u64_e32 vcc_lo, v[52:53], v[12:13]
	s_orn2_b32 s88, vcc_lo, exec_lo
	s_branch .LBB4_383
.LBB4_388:                              ;   in Loop: Header=BB4_276 Depth=3
	s_inst_prefetch 0x2
	s_or_b32 exec_lo, exec_lo, s74
	s_and_saveexec_b32 s74, s75
	s_xor_b32 s74, exec_lo, s74
	s_cbranch_execz .LBB4_390
; %bb.389:                              ;   in Loop: Header=BB4_276 Depth=3
	ds_write_b32 v0, v98
	s_trap 2
.LBB4_390:                              ;   in Loop: Header=BB4_276 Depth=3
	s_or_b32 exec_lo, exec_lo, s73
	;;#ASMSTART
	s_wakeup
	;;#ASMEND
.LBB4_391:                              ;   in Loop: Header=BB4_276 Depth=3
	s_or_b32 exec_lo, exec_lo, s27
.LBB4_392:                              ;   in Loop: Header=BB4_276 Depth=3
	s_andn2_saveexec_b32 s24, s24
	s_cbranch_execz .LBB4_394
; %bb.393:                              ;   in Loop: Header=BB4_276 Depth=3
	s_waitcnt vmcnt(0) lgkmcnt(0)
	s_waitcnt_vscnt null, 0x0
	buffer_gl1_inv
	buffer_gl0_inv
	s_barrier
.LBB4_394:                              ;   in Loop: Header=BB4_276 Depth=3
	s_or_b32 exec_lo, exec_lo, s24
	s_or_b32 exec_lo, exec_lo, s17
                                        ; implicit-def: $vgpr2
	s_and_saveexec_b32 s17, s15
	s_xor_b32 s17, exec_lo, s17
	s_cbranch_execnz .LBB4_352
.LBB4_395:                              ;   in Loop: Header=BB4_276 Depth=3
	s_andn2_saveexec_b32 s16, s17
	s_cbranch_execz .LBB4_414
.LBB4_396:                              ;   in Loop: Header=BB4_276 Depth=3
	s_and_saveexec_b32 s17, s42
	s_xor_b32 s17, exec_lo, s17
	s_cbranch_execz .LBB4_411
; %bb.397:                              ;   in Loop: Header=BB4_276 Depth=3
	s_and_saveexec_b32 s24, s11
	s_cbranch_execz .LBB4_410
; %bb.398:                              ;   in Loop: Header=BB4_276 Depth=3
	s_mov_b32 s73, exec_lo
	s_mov_b32 s27, exec_lo
	v_mbcnt_lo_u32_b32 v2, s73, 0
	;;#ASMSTART
	s_waitcnt lgkmcnt(0) vmcnt(0)
	;;#ASMEND
	v_cmpx_eq_u32_e32 0, v2
	s_cbranch_execz .LBB4_400
; %bb.399:                              ;   in Loop: Header=BB4_276 Depth=3
	s_bcnt1_i32_b32 s73, s73
	v_mov_b32_e32 v2, s73
	s_waitcnt vmcnt(0) lgkmcnt(0)
	s_waitcnt_vscnt null, 0x0
	ds_add_u64 v0, v[2:3]
	s_trap 2
.LBB4_400:                              ;   in Loop: Header=BB4_276 Depth=3
	s_or_b32 exec_lo, exec_lo, s27
	s_trap 2
	ds_read_b64 v[52:53], v0
	s_waitcnt vmcnt(0) lgkmcnt(0)
	buffer_gl0_inv
	v_add_co_u32 v12, vcc_lo, v12, v87
	v_add_co_ci_u32_e64 v13, null, 0, v13, vcc_lo
	s_mov_b32 s27, exec_lo
	v_cmpx_lt_u64_e64 v[52:53], v[12:13]
	s_cbranch_execz .LBB4_409
; %bb.401:                              ;   in Loop: Header=BB4_276 Depth=3
	s_mov_b32 s73, 0
	s_mov_b32 s76, 0
                                        ; implicit-def: $sgpr74
                                        ; implicit-def: $sgpr75
	s_inst_prefetch 0x1
	s_branch .LBB4_403
	.p2align	6
.LBB4_402:                              ;   in Loop: Header=BB4_403 Depth=4
	s_or_b32 exec_lo, exec_lo, s78
	s_and_b32 s77, exec_lo, s79
	s_or_b32 s73, s77, s73
	s_andn2_b32 s74, s74, exec_lo
	s_and_b32 s77, s75, exec_lo
	s_or_b32 s74, s74, s77
	s_andn2_b32 exec_lo, exec_lo, s73
	s_cbranch_execz .LBB4_407
.LBB4_403:                              ;   Parent Loop BB4_47 Depth=1
                                        ;     Parent Loop BB4_273 Depth=2
                                        ;       Parent Loop BB4_276 Depth=3
                                        ; =>      This Inner Loop Header: Depth=4
	s_add_i32 s76, s76, 1
	s_cmpk_lg_i32 s76, 0x2710
	s_cselect_b32 s77, -1, 0
	s_and_b32 vcc_lo, exec_lo, s77
	s_cbranch_vccz .LBB4_405
; %bb.404:                              ;   in Loop: Header=BB4_403 Depth=4
	s_mov_b32 s79, -1
	s_or_b32 s75, s75, exec_lo
	s_and_saveexec_b32 s78, s77
	s_cbranch_execz .LBB4_402
	s_branch .LBB4_406
	.p2align	6
.LBB4_405:                              ;   in Loop: Header=BB4_403 Depth=4
	s_trap 2
	ds_read_b64 v[52:53], v0
	s_andn2_b32 s77, s77, exec_lo
	s_mov_b32 s76, 0
	s_waitcnt lgkmcnt(0)
	s_waitcnt_vscnt null, 0x0
	flat_load_dword v2, v[52:53] glc dlc
	s_waitcnt vmcnt(0) lgkmcnt(0)
	buffer_gl1_inv
	buffer_gl0_inv
	v_cmp_eq_u32_e32 vcc_lo, 0, v2
	s_and_b32 s78, vcc_lo, exec_lo
	s_or_b32 s77, s77, s78
	s_mov_b32 s79, -1
	s_or_b32 s75, s75, exec_lo
	s_and_saveexec_b32 s78, s77
	s_cbranch_execz .LBB4_402
.LBB4_406:                              ;   in Loop: Header=BB4_403 Depth=4
	s_sleep 1
	s_trap 2
	ds_read_b64 v[52:53], v0
	s_waitcnt lgkmcnt(0)
	buffer_gl0_inv
	s_andn2_b32 s75, s75, exec_lo
	v_cmp_ge_u64_e32 vcc_lo, v[52:53], v[12:13]
	s_orn2_b32 s79, vcc_lo, exec_lo
	s_branch .LBB4_402
.LBB4_407:                              ;   in Loop: Header=BB4_276 Depth=3
	s_inst_prefetch 0x2
	s_or_b32 exec_lo, exec_lo, s73
	s_and_saveexec_b32 s73, s74
	s_xor_b32 s73, exec_lo, s73
	s_cbranch_execz .LBB4_409
; %bb.408:                              ;   in Loop: Header=BB4_276 Depth=3
	ds_write_b32 v0, v98
	s_trap 2
.LBB4_409:                              ;   in Loop: Header=BB4_276 Depth=3
	s_or_b32 exec_lo, exec_lo, s27
	;;#ASMSTART
	s_wakeup
	;;#ASMEND
.LBB4_410:                              ;   in Loop: Header=BB4_276 Depth=3
	s_or_b32 exec_lo, exec_lo, s24
.LBB4_411:                              ;   in Loop: Header=BB4_276 Depth=3
	s_andn2_saveexec_b32 s17, s17
	s_cbranch_execz .LBB4_413
; %bb.412:                              ;   in Loop: Header=BB4_276 Depth=3
	;;#ASMSTART
	s_waitcnt lgkmcnt(0) vmcnt(0)
	;;#ASMEND
	s_barrier
.LBB4_413:                              ;   in Loop: Header=BB4_276 Depth=3
	s_or_b32 exec_lo, exec_lo, s17
	v_and_b32_e32 v2, 16, v85
.LBB4_414:                              ;   in Loop: Header=BB4_276 Depth=3
	s_or_b32 exec_lo, exec_lo, s16
	v_cmp_ne_u32_e32 vcc_lo, 0, v2
	s_xor_b32 s16, s7, -1
	s_and_b32 s17, vcc_lo, s16
	s_and_saveexec_b32 s16, s17
	s_cbranch_execz .LBB4_416
; %bb.415:                              ;   in Loop: Header=BB4_276 Depth=3
	s_waitcnt vmcnt(0) lgkmcnt(0)
	s_waitcnt_vscnt null, 0x0
	flat_store_dword v[24:25], v98
.LBB4_416:                              ;   in Loop: Header=BB4_276 Depth=3
	s_or_b32 exec_lo, exec_lo, s16
	v_and_b32_e32 v2, 48, v85
	s_mov_b32 s16, exec_lo
	v_cmpx_ne_u32_e32 0, v2
	s_cbranch_execz .LBB4_275
; %bb.417:                              ;   in Loop: Header=BB4_276 Depth=3
	v_add_co_u32 v36, vcc_lo, v36, 2
	v_add_co_ci_u32_e64 v37, null, 0, v37, vcc_lo
	s_waitcnt vmcnt(0) lgkmcnt(0)
	s_waitcnt_vscnt null, 0x0
	flat_store_dwordx2 v[20:21], v[36:37]
	s_branch .LBB4_275
.LBB4_418:                              ;   in Loop: Header=BB4_273 Depth=2
	s_or_b32 exec_lo, exec_lo, s20
.LBB4_419:                              ;   in Loop: Header=BB4_273 Depth=2
	s_or_b32 exec_lo, exec_lo, s19
	s_mov_b32 s17, exec_lo
	v_cmpx_gt_i32_e32 2, v2
	s_cbranch_execz .LBB4_272
; %bb.420:                              ;   in Loop: Header=BB4_273 Depth=2
	v_cmp_eq_u32_e64 s20, 0, v2
	s_mov_b32 s19, 0
	s_branch .LBB4_422
.LBB4_421:                              ;   in Loop: Header=BB4_422 Depth=3
	s_or_b32 exec_lo, exec_lo, s16
	v_add_nc_u32_e32 v10, v8, v10
	s_mov_b32 s20, 0
	s_andn2_b32 exec_lo, exec_lo, s19
	s_cbranch_execz .LBB4_271
.LBB4_422:                              ;   Parent Loop BB4_47 Depth=1
                                        ;     Parent Loop BB4_273 Depth=2
                                        ; =>    This Loop Header: Depth=3
                                        ;         Child Loop BB4_428 Depth 4
                                        ;         Child Loop BB4_456 Depth 4
	;; [unrolled: 1-line block ×3, first 2 shown]
	v_sub_nc_u32_e32 v2, v70, v10
	v_and_b32_e32 v9, 12, v85
	s_mov_b32 s21, exec_lo
	v_min_i32_e32 v8, v8, v2
	v_cmpx_ne_u32_e32 0, v9
	s_cbranch_execz .LBB4_448
; %bb.423:                              ;   in Loop: Header=BB4_422 Depth=3
	v_and_b32_e32 v2, 8, v85
	s_mov_b32 s22, exec_lo
	s_waitcnt vmcnt(0) lgkmcnt(1)
	v_add_co_u32 v52, vcc_lo, v26, v2
	v_add_co_ci_u32_e64 v53, null, 0, v27, vcc_lo
	v_add_co_u32 v50, vcc_lo, v36, 2
	v_add_co_ci_u32_e64 v51, null, 0, v37, vcc_lo
	v_cmpx_lt_u64_e64 v[52:53], v[50:51]
	s_cbranch_execz .LBB4_435
; %bb.424:                              ;   in Loop: Header=BB4_422 Depth=3
	v_and_b32_e32 v9, 64, v85
	s_mov_b32 s24, 0
	s_mov_b32 s75, 0
                                        ; implicit-def: $sgpr27
                                        ; implicit-def: $sgpr73
                                        ; implicit-def: $sgpr74
	v_cmp_eq_u32_e32 vcc_lo, 0, v9
	s_branch .LBB4_428
.LBB4_425:                              ;   in Loop: Header=BB4_428 Depth=4
	s_waitcnt vmcnt(0) lgkmcnt(0)
	v_add_co_u32 v52, s16, v26, v2
	v_add_co_ci_u32_e64 v53, null, 0, v27, s16
	s_or_b32 s78, s78, exec_lo
	v_cmp_ge_u64_e64 s16, v[52:53], v[50:51]
	s_orn2_b32 s77, s16, exec_lo
.LBB4_426:                              ;   in Loop: Header=BB4_428 Depth=4
	s_or_b32 exec_lo, exec_lo, s88
	s_andn2_b32 s16, s74, exec_lo
	s_and_b32 s74, s78, exec_lo
	s_andn2_b32 s73, s73, exec_lo
	s_and_b32 s77, s77, exec_lo
	s_or_b32 s74, s16, s74
	s_or_b32 s73, s73, s77
.LBB4_427:                              ;   in Loop: Header=BB4_428 Depth=4
	s_or_b32 exec_lo, exec_lo, s76
	s_and_b32 s16, exec_lo, s73
	s_or_b32 s24, s16, s24
	s_andn2_b32 s16, s27, exec_lo
	s_and_b32 s27, s74, exec_lo
	s_or_b32 s27, s16, s27
	s_andn2_b32 exec_lo, exec_lo, s24
	s_cbranch_execz .LBB4_432
.LBB4_428:                              ;   Parent Loop BB4_47 Depth=1
                                        ;     Parent Loop BB4_273 Depth=2
                                        ;       Parent Loop BB4_422 Depth=3
                                        ; =>      This Inner Loop Header: Depth=4
	s_sleep 1
	s_waitcnt vmcnt(0) lgkmcnt(0)
	flat_load_dwordx2 v[26:27], v[20:21] glc dlc
	s_or_b32 s74, s74, exec_lo
	s_or_b32 s73, s73, exec_lo
                                        ; implicit-def: $vgpr9
	s_and_saveexec_b32 s76, vcc_lo
	s_cbranch_execz .LBB4_427
; %bb.429:                              ;   in Loop: Header=BB4_428 Depth=4
	s_cmpk_lt_i32 s75, 0x270f
	s_mov_b32 s77, -1
	s_cselect_b32 s79, -1, 0
	s_cmpk_gt_i32 s75, 0x270e
	s_cbranch_scc0 .LBB4_431
; %bb.430:                              ;   in Loop: Header=BB4_428 Depth=4
	s_trap 2
	ds_read_b64 v[52:53], v0
	s_andn2_b32 s75, s79, exec_lo
	s_mov_b32 s78, 0
	s_waitcnt vmcnt(0) lgkmcnt(0)
	s_waitcnt_vscnt null, 0x0
	flat_load_dword v9, v[52:53] glc dlc
	s_waitcnt vmcnt(0) lgkmcnt(0)
	buffer_gl1_inv
	buffer_gl0_inv
	v_cmp_eq_u32_e64 s16, 0, v9
	s_and_b32 s16, s16, exec_lo
	s_or_b32 s79, s75, s16
	s_mov_b32 s75, 0
	s_and_saveexec_b32 s88, s79
	s_cbranch_execz .LBB4_426
	s_branch .LBB4_425
.LBB4_431:                              ;   in Loop: Header=BB4_428 Depth=4
	s_add_i32 s75, s75, 1
	s_mov_b32 s78, -1
                                        ; implicit-def: $vgpr9
	s_and_saveexec_b32 s88, s79
	s_cbranch_execz .LBB4_426
	s_branch .LBB4_425
.LBB4_432:                              ;   in Loop: Header=BB4_422 Depth=3
	s_or_b32 exec_lo, exec_lo, s24
	s_xor_b32 s16, s27, -1
	s_and_saveexec_b32 s24, s16
	s_xor_b32 s16, exec_lo, s24
	s_cbranch_execz .LBB4_434
; %bb.433:                              ;   in Loop: Header=BB4_422 Depth=3
	v_or_b32_e32 v85, 64, v85
	s_waitcnt vmcnt(0) lgkmcnt(0)
	s_waitcnt_vscnt null, 0x0
	ds_write_b32 v0, v9
	s_trap 2
.LBB4_434:                              ;   in Loop: Header=BB4_422 Depth=3
	s_or_b32 exec_lo, exec_lo, s16
.LBB4_435:                              ;   in Loop: Header=BB4_422 Depth=3
	s_or_b32 exec_lo, exec_lo, s22
	v_and_b32_e32 v9, 0x108, v85
	s_mov_b32 s16, exec_lo
	;;#ASMSTART
	s_wakeup
	;;#ASMEND
	v_cmpx_ne_u32_e32 0x108, v9
	s_xor_b32 s16, exec_lo, s16
                                        ; implicit-def: $vgpr11
; %bb.436:                              ;   in Loop: Header=BB4_422 Depth=3
	v_and_b32_e32 v11, 7, v36
                                        ; implicit-def: $vgpr36_vgpr37
; %bb.437:                              ;   in Loop: Header=BB4_422 Depth=3
	s_andn2_saveexec_b32 s16, s16
	s_cbranch_execz .LBB4_439
; %bb.438:                              ;   in Loop: Header=BB4_422 Depth=3
	v_and_b32_e32 v11, 7, v36
	v_ashrrev_i32_e32 v9, 31, v8
	v_mad_u64_u32 v[36:37], null, v11, 24, v[6:7]
	v_lshlrev_b64 v[52:53], 3, v[8:9]
	flat_store_dwordx2 v[36:37], v[52:53] offset:8
.LBB4_439:                              ;   in Loop: Header=BB4_422 Depth=3
	s_or_b32 exec_lo, exec_lo, s16
	v_and_b32_e32 v9, 0x100, v85
	s_mov_b32 s16, -1
	s_mov_b32 s22, exec_lo
                                        ; implicit-def: $vgpr36_vgpr37
	v_cmpx_ne_u32_e32 0, v9
	s_cbranch_execz .LBB4_443
; %bb.440:                              ;   in Loop: Header=BB4_422 Depth=3
	v_mad_u64_u32 v[52:53], null, v11, 24, v[6:7]
	s_mov_b32 s24, exec_lo
	v_mov_b32_e32 v9, v53
	v_mad_u64_u32 v[36:37], null, v3, 24, v[9:10]
	v_mov_b32_e32 v53, v36
                                        ; implicit-def: $vgpr36_vgpr37
	flat_load_dword v9, v[52:53]
	s_waitcnt vmcnt(0) lgkmcnt(0)
	v_cmp_ne_u32_e32 vcc_lo, 1, v9
	v_cmpx_eq_u32_e32 1, v9
	s_cbranch_execz .LBB4_442
; %bb.441:                              ;   in Loop: Header=BB4_422 Depth=3
	flat_load_dword v36, v[52:53] offset:4 glc dlc
	s_waitcnt vmcnt(0) lgkmcnt(0)
	v_ashrrev_i32_e32 v37, 31, v36
	v_lshrrev_b64 v[36:37], 3, v[36:37]
.LBB4_442:                              ;   in Loop: Header=BB4_422 Depth=3
	s_or_b32 exec_lo, exec_lo, s24
	s_orn2_b32 s16, vcc_lo, exec_lo
.LBB4_443:                              ;   in Loop: Header=BB4_422 Depth=3
	s_or_b32 exec_lo, exec_lo, s22
	s_and_saveexec_b32 s22, s16
; %bb.444:                              ;   in Loop: Header=BB4_422 Depth=3
	v_mul_lo_u32 v9, v3, v86
	v_mul_lo_u32 v52, v11, v30
	v_mad_u64_u32 v[36:37], null, v11, v86, 0
	v_add3_u32 v37, v37, v52, v9
; %bb.445:                              ;   in Loop: Header=BB4_422 Depth=3
	s_or_b32 exec_lo, exec_lo, s22
	v_cmp_eq_u32_e32 vcc_lo, 0, v2
	v_lshlrev_b64 v[36:37], 3, v[36:37]
	v_and_b32_e32 v9, 0x2000, v85
	s_mov_b32 s16, exec_lo
	v_cndmask_b32_e32 v2, 0xc8, v99, vcc_lo
	v_add_co_u32 v36, vcc_lo, v22, v36
	v_add_co_ci_u32_e64 v37, null, v23, v37, vcc_lo
	v_add_nc_u32_e32 v2, v0, v2
	ds_write_b64 v2, v[36:37] offset:584
	v_cmpx_ne_u32_e32 0, v9
	s_cbranch_execz .LBB4_447
; %bb.446:                              ;   in Loop: Header=BB4_422 Depth=3
	ds_read_b64 v[36:37], v0 offset:872
	s_waitcnt lgkmcnt(0)
	v_add_co_u32 v36, vcc_lo, v36, 1
	v_add_co_ci_u32_e64 v37, null, 0, v37, vcc_lo
	ds_write_b64 v0, v[36:37] offset:872
.LBB4_447:                              ;   in Loop: Header=BB4_422 Depth=3
	s_or_b32 exec_lo, exec_lo, s16
	v_mov_b32_e32 v36, v50
	v_mov_b32_e32 v37, v51
.LBB4_448:                              ;   in Loop: Header=BB4_422 Depth=3
	s_or_b32 exec_lo, exec_lo, s21
	s_xor_b32 s16, s20, -1
	s_and_b32 s16, exec_lo, s16
	s_or_b32 s19, s16, s19
	s_and_saveexec_b32 s16, s6
	s_cbranch_execz .LBB4_467
; %bb.449:                              ;   in Loop: Header=BB4_422 Depth=3
	s_and_saveexec_b32 s20, s42
	s_xor_b32 s20, exec_lo, s20
	s_cbranch_execz .LBB4_464
; %bb.450:                              ;   in Loop: Header=BB4_422 Depth=3
	s_and_saveexec_b32 s21, s11
	s_cbranch_execz .LBB4_463
; %bb.451:                              ;   in Loop: Header=BB4_422 Depth=3
	s_mov_b32 s24, exec_lo
	s_mov_b32 s22, exec_lo
	v_mbcnt_lo_u32_b32 v2, s24, 0
	s_waitcnt vmcnt(0) lgkmcnt(0)
	s_waitcnt_vscnt null, 0x0
	buffer_gl1_inv
	buffer_gl0_inv
	v_cmpx_eq_u32_e32 0, v2
	s_cbranch_execz .LBB4_453
; %bb.452:                              ;   in Loop: Header=BB4_422 Depth=3
	s_bcnt1_i32_b32 s24, s24
	v_mov_b32_e32 v2, s24
	ds_add_u64 v0, v[2:3]
	s_trap 2
.LBB4_453:                              ;   in Loop: Header=BB4_422 Depth=3
	s_or_b32 exec_lo, exec_lo, s22
	s_trap 2
	ds_read_b64 v[50:51], v0
	s_waitcnt lgkmcnt(0)
	buffer_gl0_inv
	v_add_co_u32 v12, vcc_lo, v12, v87
	v_add_co_ci_u32_e64 v13, null, 0, v13, vcc_lo
	s_mov_b32 s22, exec_lo
	v_cmpx_lt_u64_e64 v[50:51], v[12:13]
	s_cbranch_execz .LBB4_462
; %bb.454:                              ;   in Loop: Header=BB4_422 Depth=3
	s_mov_b32 s24, 0
	s_mov_b32 s74, 0
                                        ; implicit-def: $sgpr27
                                        ; implicit-def: $sgpr73
	s_inst_prefetch 0x1
	s_branch .LBB4_456
	.p2align	6
.LBB4_455:                              ;   in Loop: Header=BB4_456 Depth=4
	s_or_b32 exec_lo, exec_lo, s76
	s_and_b32 s75, exec_lo, s77
	s_or_b32 s24, s75, s24
	s_andn2_b32 s27, s27, exec_lo
	s_and_b32 s75, s73, exec_lo
	s_or_b32 s27, s27, s75
	s_andn2_b32 exec_lo, exec_lo, s24
	s_cbranch_execz .LBB4_460
.LBB4_456:                              ;   Parent Loop BB4_47 Depth=1
                                        ;     Parent Loop BB4_273 Depth=2
                                        ;       Parent Loop BB4_422 Depth=3
                                        ; =>      This Inner Loop Header: Depth=4
	s_add_i32 s74, s74, 1
	s_cmpk_lg_i32 s74, 0x2710
	s_cselect_b32 s75, -1, 0
	s_and_b32 vcc_lo, exec_lo, s75
	s_cbranch_vccz .LBB4_458
; %bb.457:                              ;   in Loop: Header=BB4_456 Depth=4
	s_mov_b32 s77, -1
	s_or_b32 s73, s73, exec_lo
	s_and_saveexec_b32 s76, s75
	s_cbranch_execz .LBB4_455
	s_branch .LBB4_459
	.p2align	6
.LBB4_458:                              ;   in Loop: Header=BB4_456 Depth=4
	s_trap 2
	ds_read_b64 v[50:51], v0
	s_andn2_b32 s75, s75, exec_lo
	s_mov_b32 s74, 0
	s_waitcnt lgkmcnt(0)
	flat_load_dword v2, v[50:51] glc dlc
	s_waitcnt vmcnt(0) lgkmcnt(0)
	buffer_gl1_inv
	buffer_gl0_inv
	v_cmp_eq_u32_e32 vcc_lo, 0, v2
	s_and_b32 s76, vcc_lo, exec_lo
	s_or_b32 s75, s75, s76
	s_mov_b32 s77, -1
	s_or_b32 s73, s73, exec_lo
	s_and_saveexec_b32 s76, s75
	s_cbranch_execz .LBB4_455
.LBB4_459:                              ;   in Loop: Header=BB4_456 Depth=4
	s_sleep 1
	s_trap 2
	ds_read_b64 v[50:51], v0
	s_waitcnt lgkmcnt(0)
	buffer_gl0_inv
	s_andn2_b32 s73, s73, exec_lo
	v_cmp_ge_u64_e32 vcc_lo, v[50:51], v[12:13]
	s_orn2_b32 s77, vcc_lo, exec_lo
	s_branch .LBB4_455
.LBB4_460:                              ;   in Loop: Header=BB4_422 Depth=3
	s_inst_prefetch 0x2
	s_or_b32 exec_lo, exec_lo, s24
	s_and_saveexec_b32 s24, s27
	s_xor_b32 s24, exec_lo, s24
	s_cbranch_execz .LBB4_462
; %bb.461:                              ;   in Loop: Header=BB4_422 Depth=3
	ds_write_b32 v0, v98
	s_trap 2
.LBB4_462:                              ;   in Loop: Header=BB4_422 Depth=3
	s_or_b32 exec_lo, exec_lo, s22
	;;#ASMSTART
	s_wakeup
	;;#ASMEND
.LBB4_463:                              ;   in Loop: Header=BB4_422 Depth=3
	s_or_b32 exec_lo, exec_lo, s21
.LBB4_464:                              ;   in Loop: Header=BB4_422 Depth=3
	s_andn2_saveexec_b32 s20, s20
	s_cbranch_execz .LBB4_466
; %bb.465:                              ;   in Loop: Header=BB4_422 Depth=3
	s_waitcnt vmcnt(0) lgkmcnt(0)
	s_waitcnt_vscnt null, 0x0
	buffer_gl1_inv
	buffer_gl0_inv
	s_barrier
.LBB4_466:                              ;   in Loop: Header=BB4_422 Depth=3
	s_or_b32 exec_lo, exec_lo, s20
.LBB4_467:                              ;   in Loop: Header=BB4_422 Depth=3
	s_or_b32 exec_lo, exec_lo, s16
                                        ; implicit-def: $vgpr2
	s_and_saveexec_b32 s16, s58
	s_xor_b32 s16, exec_lo, s16
	s_cbranch_execz .LBB4_479
; %bb.468:                              ;   in Loop: Header=BB4_422 Depth=3
	s_and_saveexec_b32 s20, s42
	s_xor_b32 s20, exec_lo, s20
	s_cbranch_execz .LBB4_484
; %bb.469:                              ;   in Loop: Header=BB4_422 Depth=3
	s_and_saveexec_b32 s21, s11
	s_cbranch_execz .LBB4_483
; %bb.470:                              ;   in Loop: Header=BB4_422 Depth=3
	s_mov_b32 s24, exec_lo
	s_mov_b32 s22, exec_lo
	v_mbcnt_lo_u32_b32 v2, s24, 0
	;;#ASMSTART
	s_waitcnt lgkmcnt(0) vmcnt(0)
	;;#ASMEND
	v_cmpx_eq_u32_e32 0, v2
	s_cbranch_execz .LBB4_472
; %bb.471:                              ;   in Loop: Header=BB4_422 Depth=3
	s_bcnt1_i32_b32 s24, s24
	v_mov_b32_e32 v2, s24
	s_waitcnt vmcnt(0) lgkmcnt(0)
	s_waitcnt_vscnt null, 0x0
	ds_add_u64 v0, v[2:3]
	s_trap 2
.LBB4_472:                              ;   in Loop: Header=BB4_422 Depth=3
	s_or_b32 exec_lo, exec_lo, s22
	s_trap 2
	ds_read_b64 v[50:51], v0
	s_waitcnt vmcnt(0) lgkmcnt(0)
	buffer_gl0_inv
	v_add_co_u32 v12, vcc_lo, v12, v87
	v_add_co_ci_u32_e64 v13, null, 0, v13, vcc_lo
	s_mov_b32 s22, exec_lo
	v_cmpx_lt_u64_e64 v[50:51], v[12:13]
	s_cbranch_execz .LBB4_482
; %bb.473:                              ;   in Loop: Header=BB4_422 Depth=3
	s_mov_b32 s24, 0
	s_mov_b32 s74, 0
                                        ; implicit-def: $sgpr27
                                        ; implicit-def: $sgpr73
	s_inst_prefetch 0x1
	s_branch .LBB4_475
	.p2align	6
.LBB4_474:                              ;   in Loop: Header=BB4_475 Depth=4
	s_or_b32 exec_lo, exec_lo, s76
	s_and_b32 s75, exec_lo, s77
	s_or_b32 s24, s75, s24
	s_andn2_b32 s27, s27, exec_lo
	s_and_b32 s75, s73, exec_lo
	s_or_b32 s27, s27, s75
	s_andn2_b32 exec_lo, exec_lo, s24
	s_cbranch_execz .LBB4_480
.LBB4_475:                              ;   Parent Loop BB4_47 Depth=1
                                        ;     Parent Loop BB4_273 Depth=2
                                        ;       Parent Loop BB4_422 Depth=3
                                        ; =>      This Inner Loop Header: Depth=4
	s_add_i32 s74, s74, 1
	s_cmpk_lg_i32 s74, 0x2710
	s_cselect_b32 s75, -1, 0
	s_and_b32 vcc_lo, exec_lo, s75
	s_cbranch_vccz .LBB4_477
; %bb.476:                              ;   in Loop: Header=BB4_475 Depth=4
	s_mov_b32 s77, -1
	s_or_b32 s73, s73, exec_lo
	s_and_saveexec_b32 s76, s75
	s_cbranch_execz .LBB4_474
	s_branch .LBB4_478
	.p2align	6
.LBB4_477:                              ;   in Loop: Header=BB4_475 Depth=4
	s_trap 2
	ds_read_b64 v[50:51], v0
	s_andn2_b32 s75, s75, exec_lo
	s_mov_b32 s74, 0
	s_waitcnt lgkmcnt(0)
	s_waitcnt_vscnt null, 0x0
	flat_load_dword v2, v[50:51] glc dlc
	s_waitcnt vmcnt(0) lgkmcnt(0)
	buffer_gl1_inv
	buffer_gl0_inv
	v_cmp_eq_u32_e32 vcc_lo, 0, v2
	s_and_b32 s76, vcc_lo, exec_lo
	s_or_b32 s75, s75, s76
	s_mov_b32 s77, -1
	s_or_b32 s73, s73, exec_lo
	s_and_saveexec_b32 s76, s75
	s_cbranch_execz .LBB4_474
.LBB4_478:                              ;   in Loop: Header=BB4_475 Depth=4
	s_sleep 1
	s_trap 2
	ds_read_b64 v[50:51], v0
	s_waitcnt lgkmcnt(0)
	buffer_gl0_inv
	s_andn2_b32 s73, s73, exec_lo
	v_cmp_ge_u64_e32 vcc_lo, v[50:51], v[12:13]
	s_orn2_b32 s77, vcc_lo, exec_lo
	s_branch .LBB4_474
.LBB4_479:                              ;   in Loop: Header=BB4_422 Depth=3
	s_andn2_saveexec_b32 s20, s16
	s_cbranch_execnz .LBB4_487
	s_branch .LBB4_490
.LBB4_480:                              ;   in Loop: Header=BB4_422 Depth=3
	s_inst_prefetch 0x2
	s_or_b32 exec_lo, exec_lo, s24
	s_and_saveexec_b32 s24, s27
	s_xor_b32 s24, exec_lo, s24
	s_cbranch_execz .LBB4_482
; %bb.481:                              ;   in Loop: Header=BB4_422 Depth=3
	ds_write_b32 v0, v98
	s_trap 2
.LBB4_482:                              ;   in Loop: Header=BB4_422 Depth=3
	s_or_b32 exec_lo, exec_lo, s22
	;;#ASMSTART
	s_wakeup
	;;#ASMEND
.LBB4_483:                              ;   in Loop: Header=BB4_422 Depth=3
	s_or_b32 exec_lo, exec_lo, s21
.LBB4_484:                              ;   in Loop: Header=BB4_422 Depth=3
	s_andn2_saveexec_b32 s20, s20
	s_cbranch_execz .LBB4_486
; %bb.485:                              ;   in Loop: Header=BB4_422 Depth=3
	;;#ASMSTART
	s_waitcnt lgkmcnt(0) vmcnt(0)
	;;#ASMEND
	s_barrier
.LBB4_486:                              ;   in Loop: Header=BB4_422 Depth=3
	s_or_b32 exec_lo, exec_lo, s20
	v_and_b32_e32 v2, 16, v85
	s_andn2_saveexec_b32 s20, s16
	s_cbranch_execz .LBB4_490
.LBB4_487:                              ;   in Loop: Header=BB4_422 Depth=3
	s_trap 2
	ds_read_b32 v2, v0
	v_cmp_lt_i32_e32 vcc_lo, 0, v8
	s_waitcnt lgkmcnt(0)
	v_readfirstlane_b32 s16, v2
	v_and_b32_e32 v2, 16, v85
	s_cmp_eq_u32 s16, 0
	v_cmp_ne_u32_e64 s16, 0, v2
	s_cselect_b32 s21, -1, 0
	v_and_b32_e32 v2, 16, v85
	s_and_b32 s21, vcc_lo, s21
	s_and_b32 s21, s16, s21
	s_and_saveexec_b32 s16, s21
	s_cbranch_execz .LBB4_489
; %bb.488:                              ;   in Loop: Header=BB4_422 Depth=3
	v_mov_b32_e32 v2, 1
	s_waitcnt vmcnt(0)
	s_waitcnt_vscnt null, 0x0
	buffer_gl1_inv
	buffer_gl0_inv
.LBB4_489:                              ;   in Loop: Header=BB4_422 Depth=3
	s_or_b32 exec_lo, exec_lo, s16
.LBB4_490:                              ;   in Loop: Header=BB4_422 Depth=3
	s_or_b32 exec_lo, exec_lo, s20
	v_cmp_ne_u32_e32 vcc_lo, 0, v2
	s_xor_b32 s16, s7, -1
	s_and_b32 s20, vcc_lo, s16
	s_and_saveexec_b32 s16, s20
	s_cbranch_execz .LBB4_492
; %bb.491:                              ;   in Loop: Header=BB4_422 Depth=3
	s_waitcnt vmcnt(0) lgkmcnt(0)
	s_waitcnt_vscnt null, 0x0
	flat_store_dword v[24:25], v98
.LBB4_492:                              ;   in Loop: Header=BB4_422 Depth=3
	s_or_b32 exec_lo, exec_lo, s16
	v_and_b32_e32 v2, 48, v85
	s_mov_b32 s16, exec_lo
	v_cmpx_ne_u32_e32 0, v2
	s_cbranch_execz .LBB4_421
; %bb.493:                              ;   in Loop: Header=BB4_422 Depth=3
	v_add_co_u32 v36, vcc_lo, v36, 2
	v_add_co_ci_u32_e64 v37, null, 0, v37, vcc_lo
	s_waitcnt vmcnt(0) lgkmcnt(0)
	s_waitcnt_vscnt null, 0x0
	flat_store_dwordx2 v[20:21], v[36:37]
	s_branch .LBB4_421
.LBB4_494:                              ;   in Loop: Header=BB4_47 Depth=1
	v_mul_lo_u32 v2, v35, s29
	v_mul_lo_u32 v10, v34, s41
	v_mad_u64_u32 v[8:9], null, v34, s29, 0
	v_mov_b32_e32 v52, 0
	v_add3_u32 v9, v9, v10, v2
	v_sub_co_u32 v10, vcc_lo, v38, v8
	v_sub_co_ci_u32_e64 v11, null, v39, v9, vcc_lo
	v_cmp_lt_i64_e32 vcc_lo, v[34:35], v[10:11]
	v_cndmask_b32_e32 v10, v10, v34, vcc_lo
	v_max_i32_e32 v43, 0, v10
	v_cmp_lt_i32_e32 vcc_lo, 0, v10
	v_add_nc_u32_e32 v2, 31, v43
	s_and_b32 s16, s60, vcc_lo
	v_lshrrev_b32_e32 v2, 1, v2
	v_and_b32_e32 v11, 0x3ffffff0, v2
	v_mov_b32_e32 v2, 0
	v_max_i32_e32 v50, s56, v11
	s_and_saveexec_b32 s27, s16
	s_cbranch_execz .LBB4_719
; %bb.495:                              ;   in Loop: Header=BB4_47 Depth=1
	v_add_co_u32 v8, vcc_lo, v8, v48
	v_add_co_ci_u32_e64 v9, null, v9, v49, vcc_lo
	v_mov_b32_e32 v52, 0
	s_mov_b32 s75, 1
	s_mov_b32 s74, -1
	v_lshlrev_b64 v[54:55], 3, v[8:9]
	s_mov_b32 s73, 0
	s_branch .LBB4_497
.LBB4_496:                              ;   in Loop: Header=BB4_497 Depth=2
	s_or_b32 exec_lo, exec_lo, s16
	v_add_nc_u32_e32 v52, v50, v52
	s_xor_b32 s16, s74, -1
	v_mov_b32_e32 v2, s75
	s_mov_b32 s74, 0
	s_mov_b32 s75, 2
	v_cmp_ge_i32_e32 vcc_lo, v52, v43
	s_or_b32 s16, s16, vcc_lo
	s_and_b32 s16, exec_lo, s16
	s_or_b32 s73, s16, s73
	s_andn2_b32 exec_lo, exec_lo, s73
	s_cbranch_execz .LBB4_718
.LBB4_497:                              ;   Parent Loop BB4_47 Depth=1
                                        ; =>  This Loop Header: Depth=2
                                        ;       Child Loop BB4_505 Depth 3
                                        ;       Child Loop BB4_533 Depth 3
	;; [unrolled: 1-line block ×5, first 2 shown]
                                        ;         Child Loop BB4_597 Depth 4
                                        ;       Child Loop BB4_611 Depth 3
                                        ;       Child Loop BB4_621 Depth 3
                                        ;         Child Loop BB4_622 Depth 4
                                        ;       Child Loop BB4_642 Depth 3
                                        ;       Child Loop BB4_652 Depth 3
	;; [unrolled: 1-line block ×6, first 2 shown]
	s_and_saveexec_b32 s17, s4
	s_cbranch_execz .LBB4_499
; %bb.498:                              ;   in Loop: Header=BB4_497 Depth=2
	s_trap 2
	ds_read2_b64 v[8:11], v0 offset1:1
	ds_read_b64 v[64:65], v0
	v_ashrrev_i32_e32 v53, 31, v52
	v_lshlrev_b64 v[66:67], 3, v[52:53]
	s_waitcnt lgkmcnt(1)
	v_add_co_u32 v2, vcc_lo, v8, v54
	v_add_co_ci_u32_e64 v9, null, v9, v55, vcc_lo
	v_add_co_u32 v10, vcc_lo, v10, v54
	v_add_co_ci_u32_e64 v11, null, v11, v55, vcc_lo
	s_waitcnt lgkmcnt(0)
	v_add_co_u32 v51, vcc_lo, v64, v54
	v_add_co_ci_u32_e64 v53, null, v65, v55, vcc_lo
	v_add_co_u32 v8, vcc_lo, v2, v66
	v_add_co_ci_u32_e64 v9, null, v9, v67, vcc_lo
	v_add_co_u32 v2, vcc_lo, v51, v66
	v_add_co_ci_u32_e64 v51, null, v53, v67, vcc_lo
	v_cmp_ne_u64_e32 vcc_lo, 0, v[64:65]
	v_add_co_u32 v10, s16, v10, v66
	v_add_co_ci_u32_e64 v11, null, v11, v67, s16
	v_cndmask_b32_e32 v65, 0, v51, vcc_lo
	v_cndmask_b32_e32 v64, 0, v2, vcc_lo
	ds_write_b64 v0, v[8:9]
	ds_write_b64 v0, v[10:11]
	;; [unrolled: 1-line block ×3, first 2 shown]
.LBB4_499:                              ;   in Loop: Header=BB4_497 Depth=2
	s_or_b32 exec_lo, exec_lo, s17
	v_sub_nc_u32_e32 v2, v43, v52
	v_and_b32_e32 v8, 12, v85
	s_mov_b32 s17, exec_lo
	v_min_i32_e32 v50, v50, v2
	v_cmpx_ne_u32_e32 0, v8
	s_cbranch_execz .LBB4_525
; %bb.500:                              ;   in Loop: Header=BB4_497 Depth=2
	v_and_b32_e32 v2, 8, v85
	s_mov_b32 s18, exec_lo
	s_waitcnt vmcnt(0) lgkmcnt(1)
	v_add_co_u32 v10, vcc_lo, v26, v2
	v_add_co_ci_u32_e64 v11, null, 0, v27, vcc_lo
	v_add_co_u32 v8, vcc_lo, v36, 2
	v_add_co_ci_u32_e64 v9, null, 0, v37, vcc_lo
	v_cmpx_lt_u64_e64 v[10:11], v[8:9]
	s_cbranch_execz .LBB4_512
; %bb.501:                              ;   in Loop: Header=BB4_497 Depth=2
	v_and_b32_e32 v10, 64, v85
	s_mov_b32 s19, 0
	s_mov_b32 s24, 0
                                        ; implicit-def: $sgpr20
                                        ; implicit-def: $sgpr21
                                        ; implicit-def: $sgpr22
	v_cmp_eq_u32_e32 vcc_lo, 0, v10
	s_branch .LBB4_505
.LBB4_502:                              ;   in Loop: Header=BB4_505 Depth=3
	s_waitcnt vmcnt(0) lgkmcnt(0)
	v_add_co_u32 v64, s16, v26, v2
	v_add_co_ci_u32_e64 v65, null, 0, v27, s16
	s_or_b32 s78, s78, exec_lo
	v_cmp_ge_u64_e64 s16, v[64:65], v[8:9]
	s_orn2_b32 s77, s16, exec_lo
.LBB4_503:                              ;   in Loop: Header=BB4_505 Depth=3
	s_or_b32 exec_lo, exec_lo, s88
	s_andn2_b32 s16, s22, exec_lo
	s_and_b32 s22, s78, exec_lo
	s_andn2_b32 s21, s21, exec_lo
	s_and_b32 s77, s77, exec_lo
	s_or_b32 s22, s16, s22
	s_or_b32 s21, s21, s77
.LBB4_504:                              ;   in Loop: Header=BB4_505 Depth=3
	s_or_b32 exec_lo, exec_lo, s76
	s_and_b32 s16, exec_lo, s21
	s_or_b32 s19, s16, s19
	s_andn2_b32 s16, s20, exec_lo
	s_and_b32 s20, s22, exec_lo
	s_or_b32 s20, s16, s20
	s_andn2_b32 exec_lo, exec_lo, s19
	s_cbranch_execz .LBB4_509
.LBB4_505:                              ;   Parent Loop BB4_47 Depth=1
                                        ;     Parent Loop BB4_497 Depth=2
                                        ; =>    This Inner Loop Header: Depth=3
	s_sleep 1
	s_waitcnt vmcnt(0) lgkmcnt(0)
	flat_load_dwordx2 v[26:27], v[20:21] glc dlc
	s_or_b32 s22, s22, exec_lo
	s_or_b32 s21, s21, exec_lo
                                        ; implicit-def: $vgpr10
	s_and_saveexec_b32 s76, vcc_lo
	s_cbranch_execz .LBB4_504
; %bb.506:                              ;   in Loop: Header=BB4_505 Depth=3
	s_cmpk_lt_i32 s24, 0x270f
	s_mov_b32 s77, -1
	s_cselect_b32 s79, -1, 0
	s_cmpk_gt_i32 s24, 0x270e
	s_cbranch_scc0 .LBB4_508
; %bb.507:                              ;   in Loop: Header=BB4_505 Depth=3
	s_trap 2
	ds_read_b64 v[10:11], v0
	s_andn2_b32 s24, s79, exec_lo
	s_mov_b32 s78, 0
	s_waitcnt vmcnt(0) lgkmcnt(0)
	s_waitcnt_vscnt null, 0x0
	flat_load_dword v10, v[10:11] glc dlc
	s_waitcnt vmcnt(0) lgkmcnt(0)
	buffer_gl1_inv
	buffer_gl0_inv
	v_cmp_eq_u32_e64 s16, 0, v10
	s_and_b32 s16, s16, exec_lo
	s_or_b32 s79, s24, s16
	s_mov_b32 s24, 0
	s_and_saveexec_b32 s88, s79
	s_cbranch_execz .LBB4_503
	s_branch .LBB4_502
.LBB4_508:                              ;   in Loop: Header=BB4_505 Depth=3
	s_add_i32 s24, s24, 1
	s_mov_b32 s78, -1
                                        ; implicit-def: $vgpr10
	s_and_saveexec_b32 s88, s79
	s_cbranch_execz .LBB4_503
	s_branch .LBB4_502
.LBB4_509:                              ;   in Loop: Header=BB4_497 Depth=2
	s_or_b32 exec_lo, exec_lo, s19
	s_xor_b32 s16, s20, -1
	s_and_saveexec_b32 s19, s16
	s_xor_b32 s16, exec_lo, s19
	s_cbranch_execz .LBB4_511
; %bb.510:                              ;   in Loop: Header=BB4_497 Depth=2
	v_or_b32_e32 v85, 64, v85
	s_waitcnt vmcnt(0) lgkmcnt(0)
	s_waitcnt_vscnt null, 0x0
	ds_write_b32 v0, v10
	s_trap 2
.LBB4_511:                              ;   in Loop: Header=BB4_497 Depth=2
	s_or_b32 exec_lo, exec_lo, s16
.LBB4_512:                              ;   in Loop: Header=BB4_497 Depth=2
	s_or_b32 exec_lo, exec_lo, s18
	v_and_b32_e32 v10, 0x108, v85
	s_mov_b32 s16, exec_lo
	;;#ASMSTART
	s_wakeup
	;;#ASMEND
	v_cmpx_ne_u32_e32 0x108, v10
	s_xor_b32 s16, exec_lo, s16
                                        ; implicit-def: $vgpr53
; %bb.513:                              ;   in Loop: Header=BB4_497 Depth=2
	v_and_b32_e32 v53, 7, v36
                                        ; implicit-def: $vgpr36_vgpr37
; %bb.514:                              ;   in Loop: Header=BB4_497 Depth=2
	s_andn2_saveexec_b32 s16, s16
	s_cbranch_execz .LBB4_516
; %bb.515:                              ;   in Loop: Header=BB4_497 Depth=2
	v_and_b32_e32 v53, 7, v36
	v_ashrrev_i32_e32 v51, 31, v50
	v_mad_u64_u32 v[10:11], null, v53, 24, v[6:7]
	v_lshlrev_b64 v[36:37], 3, v[50:51]
	flat_store_dwordx2 v[10:11], v[36:37] offset:8
.LBB4_516:                              ;   in Loop: Header=BB4_497 Depth=2
	s_or_b32 exec_lo, exec_lo, s16
	v_and_b32_e32 v10, 0x100, v85
	s_mov_b32 s16, -1
	v_cmp_ne_u32_e32 vcc_lo, 0, v10
                                        ; implicit-def: $vgpr10_vgpr11
	s_and_saveexec_b32 s18, vcc_lo
	s_cbranch_execz .LBB4_520
; %bb.517:                              ;   in Loop: Header=BB4_497 Depth=2
	v_mad_u64_u32 v[36:37], null, v53, 24, v[6:7]
	v_mov_b32_e32 v10, v37
	v_mad_u64_u32 v[10:11], null, v3, 24, v[10:11]
	v_mov_b32_e32 v37, v10
	flat_load_dword v10, v[36:37]
	s_waitcnt vmcnt(0) lgkmcnt(0)
	v_cmp_eq_u32_e64 s16, 1, v10
	v_cmp_ne_u32_e32 vcc_lo, 1, v10
                                        ; implicit-def: $vgpr10_vgpr11
	s_and_saveexec_b32 s19, s16
	s_cbranch_execz .LBB4_519
; %bb.518:                              ;   in Loop: Header=BB4_497 Depth=2
	flat_load_dword v10, v[36:37] offset:4 glc dlc
	s_waitcnt vmcnt(0) lgkmcnt(0)
	v_ashrrev_i32_e32 v11, 31, v10
	v_lshrrev_b64 v[10:11], 3, v[10:11]
.LBB4_519:                              ;   in Loop: Header=BB4_497 Depth=2
	s_or_b32 exec_lo, exec_lo, s19
	s_orn2_b32 s16, vcc_lo, exec_lo
.LBB4_520:                              ;   in Loop: Header=BB4_497 Depth=2
	s_or_b32 exec_lo, exec_lo, s18
	s_and_saveexec_b32 s18, s16
; %bb.521:                              ;   in Loop: Header=BB4_497 Depth=2
	v_mul_lo_u32 v36, v3, v86
	v_mul_lo_u32 v37, v53, v30
	v_mad_u64_u32 v[10:11], null, v53, v86, 0
	v_add3_u32 v11, v11, v37, v36
; %bb.522:                              ;   in Loop: Header=BB4_497 Depth=2
	s_or_b32 exec_lo, exec_lo, s18
	v_cmp_eq_u32_e32 vcc_lo, 0, v2
	v_lshlrev_b64 v[10:11], 3, v[10:11]
	v_and_b32_e32 v36, 0x2000, v85
	s_mov_b32 s16, exec_lo
	v_cndmask_b32_e32 v2, 0xd0, v99, vcc_lo
	v_add_co_u32 v10, vcc_lo, v22, v10
	v_add_co_ci_u32_e64 v11, null, v23, v11, vcc_lo
	v_add_nc_u32_e32 v2, v0, v2
	ds_write_b64 v2, v[10:11] offset:584
	v_cmpx_ne_u32_e32 0, v36
	s_cbranch_execz .LBB4_524
; %bb.523:                              ;   in Loop: Header=BB4_497 Depth=2
	ds_read_b64 v[10:11], v0 offset:872
	s_waitcnt lgkmcnt(0)
	v_add_co_u32 v10, vcc_lo, v10, 1
	v_add_co_ci_u32_e64 v11, null, 0, v11, vcc_lo
	ds_write_b64 v0, v[10:11] offset:872
.LBB4_524:                              ;   in Loop: Header=BB4_497 Depth=2
	s_or_b32 exec_lo, exec_lo, s16
	v_mov_b32_e32 v37, v9
	v_mov_b32_e32 v36, v8
.LBB4_525:                              ;   in Loop: Header=BB4_497 Depth=2
	s_or_b32 exec_lo, exec_lo, s17
	s_and_saveexec_b32 s16, s6
	s_cbranch_execz .LBB4_544
; %bb.526:                              ;   in Loop: Header=BB4_497 Depth=2
	s_and_saveexec_b32 s17, s42
	s_xor_b32 s17, exec_lo, s17
	s_cbranch_execz .LBB4_541
; %bb.527:                              ;   in Loop: Header=BB4_497 Depth=2
	s_and_saveexec_b32 s18, s11
	s_cbranch_execz .LBB4_540
; %bb.528:                              ;   in Loop: Header=BB4_497 Depth=2
	s_mov_b32 s20, exec_lo
	s_mov_b32 s19, exec_lo
	v_mbcnt_lo_u32_b32 v2, s20, 0
	s_waitcnt vmcnt(0) lgkmcnt(0)
	s_waitcnt_vscnt null, 0x0
	buffer_gl1_inv
	buffer_gl0_inv
	v_cmpx_eq_u32_e32 0, v2
	s_cbranch_execz .LBB4_530
; %bb.529:                              ;   in Loop: Header=BB4_497 Depth=2
	s_bcnt1_i32_b32 s20, s20
	v_mov_b32_e32 v2, s20
	ds_add_u64 v0, v[2:3]
	s_trap 2
.LBB4_530:                              ;   in Loop: Header=BB4_497 Depth=2
	s_or_b32 exec_lo, exec_lo, s19
	s_trap 2
	ds_read_b64 v[8:9], v0
	s_waitcnt lgkmcnt(0)
	buffer_gl0_inv
	v_add_co_u32 v12, vcc_lo, v12, v87
	v_add_co_ci_u32_e64 v13, null, 0, v13, vcc_lo
	s_mov_b32 s19, exec_lo
	v_cmpx_lt_u64_e64 v[8:9], v[12:13]
	s_cbranch_execz .LBB4_539
; %bb.531:                              ;   in Loop: Header=BB4_497 Depth=2
	s_mov_b32 s20, 0
	s_mov_b32 s24, 0
                                        ; implicit-def: $sgpr21
                                        ; implicit-def: $sgpr22
	s_inst_prefetch 0x1
	s_branch .LBB4_533
	.p2align	6
.LBB4_532:                              ;   in Loop: Header=BB4_533 Depth=3
	s_or_b32 exec_lo, exec_lo, s77
	s_and_b32 s76, exec_lo, s78
	s_or_b32 s20, s76, s20
	s_andn2_b32 s21, s21, exec_lo
	s_and_b32 s76, s22, exec_lo
	s_or_b32 s21, s21, s76
	s_andn2_b32 exec_lo, exec_lo, s20
	s_cbranch_execz .LBB4_537
.LBB4_533:                              ;   Parent Loop BB4_47 Depth=1
                                        ;     Parent Loop BB4_497 Depth=2
                                        ; =>    This Inner Loop Header: Depth=3
	s_add_i32 s24, s24, 1
	s_cmpk_lg_i32 s24, 0x2710
	s_cselect_b32 s76, -1, 0
	s_and_b32 vcc_lo, exec_lo, s76
	s_cbranch_vccz .LBB4_535
; %bb.534:                              ;   in Loop: Header=BB4_533 Depth=3
	s_mov_b32 s78, -1
	s_or_b32 s22, s22, exec_lo
	s_and_saveexec_b32 s77, s76
	s_cbranch_execz .LBB4_532
	s_branch .LBB4_536
	.p2align	6
.LBB4_535:                              ;   in Loop: Header=BB4_533 Depth=3
	s_trap 2
	ds_read_b64 v[8:9], v0
	s_andn2_b32 s76, s76, exec_lo
	s_mov_b32 s24, 0
	s_waitcnt lgkmcnt(0)
	flat_load_dword v2, v[8:9] glc dlc
	s_waitcnt vmcnt(0) lgkmcnt(0)
	buffer_gl1_inv
	buffer_gl0_inv
	v_cmp_eq_u32_e32 vcc_lo, 0, v2
	s_and_b32 s77, vcc_lo, exec_lo
	s_or_b32 s76, s76, s77
	s_mov_b32 s78, -1
	s_or_b32 s22, s22, exec_lo
	s_and_saveexec_b32 s77, s76
	s_cbranch_execz .LBB4_532
.LBB4_536:                              ;   in Loop: Header=BB4_533 Depth=3
	s_sleep 1
	s_trap 2
	ds_read_b64 v[8:9], v0
	s_waitcnt lgkmcnt(0)
	buffer_gl0_inv
	s_andn2_b32 s22, s22, exec_lo
	v_cmp_ge_u64_e32 vcc_lo, v[8:9], v[12:13]
	s_orn2_b32 s78, vcc_lo, exec_lo
	s_branch .LBB4_532
.LBB4_537:                              ;   in Loop: Header=BB4_497 Depth=2
	s_inst_prefetch 0x2
	s_or_b32 exec_lo, exec_lo, s20
	s_and_saveexec_b32 s20, s21
	s_xor_b32 s20, exec_lo, s20
	s_cbranch_execz .LBB4_539
; %bb.538:                              ;   in Loop: Header=BB4_497 Depth=2
	ds_write_b32 v0, v98
	s_trap 2
.LBB4_539:                              ;   in Loop: Header=BB4_497 Depth=2
	s_or_b32 exec_lo, exec_lo, s19
	;;#ASMSTART
	s_wakeup
	;;#ASMEND
.LBB4_540:                              ;   in Loop: Header=BB4_497 Depth=2
	s_or_b32 exec_lo, exec_lo, s18
.LBB4_541:                              ;   in Loop: Header=BB4_497 Depth=2
	s_andn2_saveexec_b32 s17, s17
	s_cbranch_execz .LBB4_543
; %bb.542:                              ;   in Loop: Header=BB4_497 Depth=2
	s_waitcnt vmcnt(0) lgkmcnt(0)
	s_waitcnt_vscnt null, 0x0
	buffer_gl1_inv
	buffer_gl0_inv
	s_barrier
.LBB4_543:                              ;   in Loop: Header=BB4_497 Depth=2
	s_or_b32 exec_lo, exec_lo, s17
.LBB4_544:                              ;   in Loop: Header=BB4_497 Depth=2
	s_or_b32 exec_lo, exec_lo, s16
	s_trap 2
	ds_read_b32 v8, v0
	v_and_b32_e32 v2, 0x4000, v85
	s_xor_b32 s16, s5, -1
	v_cmp_ne_u32_e32 vcc_lo, 0, v2
	s_and_b32 s17, s16, vcc_lo
	s_and_saveexec_b32 s16, s17
	s_cbranch_execz .LBB4_563
; %bb.545:                              ;   in Loop: Header=BB4_497 Depth=2
	s_and_saveexec_b32 s17, s42
	s_xor_b32 s17, exec_lo, s17
	s_cbranch_execz .LBB4_560
; %bb.546:                              ;   in Loop: Header=BB4_497 Depth=2
	s_and_saveexec_b32 s18, s11
	s_cbranch_execz .LBB4_559
; %bb.547:                              ;   in Loop: Header=BB4_497 Depth=2
	s_mov_b32 s20, exec_lo
	s_mov_b32 s19, exec_lo
	v_mbcnt_lo_u32_b32 v2, s20, 0
	s_waitcnt vmcnt(0) lgkmcnt(0)
	s_waitcnt_vscnt null, 0x0
	buffer_gl1_inv
	buffer_gl0_inv
	v_cmpx_eq_u32_e32 0, v2
	s_cbranch_execz .LBB4_549
; %bb.548:                              ;   in Loop: Header=BB4_497 Depth=2
	s_bcnt1_i32_b32 s20, s20
	v_mov_b32_e32 v2, s20
	ds_add_u64 v0, v[2:3]
	s_trap 2
.LBB4_549:                              ;   in Loop: Header=BB4_497 Depth=2
	s_or_b32 exec_lo, exec_lo, s19
	s_trap 2
	ds_read_b64 v[9:10], v0
	s_waitcnt lgkmcnt(0)
	buffer_gl0_inv
	v_add_co_u32 v12, vcc_lo, v12, v87
	v_add_co_ci_u32_e64 v13, null, 0, v13, vcc_lo
	s_mov_b32 s19, exec_lo
	v_cmpx_lt_u64_e64 v[9:10], v[12:13]
	s_cbranch_execz .LBB4_558
; %bb.550:                              ;   in Loop: Header=BB4_497 Depth=2
	s_mov_b32 s20, 0
	s_mov_b32 s24, 0
                                        ; implicit-def: $sgpr21
                                        ; implicit-def: $sgpr22
	s_inst_prefetch 0x1
	s_branch .LBB4_552
	.p2align	6
.LBB4_551:                              ;   in Loop: Header=BB4_552 Depth=3
	s_or_b32 exec_lo, exec_lo, s77
	s_and_b32 s76, exec_lo, s78
	s_or_b32 s20, s76, s20
	s_andn2_b32 s21, s21, exec_lo
	s_and_b32 s76, s22, exec_lo
	s_or_b32 s21, s21, s76
	s_andn2_b32 exec_lo, exec_lo, s20
	s_cbranch_execz .LBB4_556
.LBB4_552:                              ;   Parent Loop BB4_47 Depth=1
                                        ;     Parent Loop BB4_497 Depth=2
                                        ; =>    This Inner Loop Header: Depth=3
	s_add_i32 s24, s24, 1
	s_cmpk_lg_i32 s24, 0x2710
	s_cselect_b32 s76, -1, 0
	s_and_b32 vcc_lo, exec_lo, s76
	s_cbranch_vccz .LBB4_554
; %bb.553:                              ;   in Loop: Header=BB4_552 Depth=3
	s_mov_b32 s78, -1
	s_or_b32 s22, s22, exec_lo
	s_and_saveexec_b32 s77, s76
	s_cbranch_execz .LBB4_551
	s_branch .LBB4_555
	.p2align	6
.LBB4_554:                              ;   in Loop: Header=BB4_552 Depth=3
	s_trap 2
	ds_read_b64 v[9:10], v0
	s_andn2_b32 s76, s76, exec_lo
	s_mov_b32 s24, 0
	s_waitcnt lgkmcnt(0)
	flat_load_dword v2, v[9:10] glc dlc
	s_waitcnt vmcnt(0) lgkmcnt(0)
	buffer_gl1_inv
	buffer_gl0_inv
	v_cmp_eq_u32_e32 vcc_lo, 0, v2
	s_and_b32 s77, vcc_lo, exec_lo
	s_or_b32 s76, s76, s77
	s_mov_b32 s78, -1
	s_or_b32 s22, s22, exec_lo
	s_and_saveexec_b32 s77, s76
	s_cbranch_execz .LBB4_551
.LBB4_555:                              ;   in Loop: Header=BB4_552 Depth=3
	s_sleep 1
	s_trap 2
	ds_read_b64 v[9:10], v0
	s_waitcnt lgkmcnt(0)
	buffer_gl0_inv
	s_andn2_b32 s22, s22, exec_lo
	v_cmp_ge_u64_e32 vcc_lo, v[9:10], v[12:13]
	s_orn2_b32 s78, vcc_lo, exec_lo
	s_branch .LBB4_551
.LBB4_556:                              ;   in Loop: Header=BB4_497 Depth=2
	s_inst_prefetch 0x2
	s_or_b32 exec_lo, exec_lo, s20
	s_and_saveexec_b32 s20, s21
	s_xor_b32 s20, exec_lo, s20
	s_cbranch_execz .LBB4_558
; %bb.557:                              ;   in Loop: Header=BB4_497 Depth=2
	ds_write_b32 v0, v98
	s_trap 2
.LBB4_558:                              ;   in Loop: Header=BB4_497 Depth=2
	s_or_b32 exec_lo, exec_lo, s19
	;;#ASMSTART
	s_wakeup
	;;#ASMEND
.LBB4_559:                              ;   in Loop: Header=BB4_497 Depth=2
	s_or_b32 exec_lo, exec_lo, s18
.LBB4_560:                              ;   in Loop: Header=BB4_497 Depth=2
	s_andn2_saveexec_b32 s17, s17
	s_cbranch_execz .LBB4_562
; %bb.561:                              ;   in Loop: Header=BB4_497 Depth=2
	s_waitcnt vmcnt(0) lgkmcnt(0)
	s_waitcnt_vscnt null, 0x0
	buffer_gl1_inv
	buffer_gl0_inv
	s_barrier
.LBB4_562:                              ;   in Loop: Header=BB4_497 Depth=2
	s_or_b32 exec_lo, exec_lo, s17
.LBB4_563:                              ;   in Loop: Header=BB4_497 Depth=2
	s_or_b32 exec_lo, exec_lo, s16
	s_trap 2
	ds_read_b64 v[64:65], v0
	s_waitcnt lgkmcnt(0)
	v_cmp_eq_u64_e32 vcc_lo, 0, v[64:65]
	s_cbranch_vccnz .LBB4_575
; %bb.564:                              ;   in Loop: Header=BB4_497 Depth=2
	s_trap 2
	ds_read_b64 v[66:67], v0
	s_waitcnt lgkmcnt(0)
	v_cmp_eq_u64_e32 vcc_lo, 0, v[66:67]
	s_cbranch_vccnz .LBB4_575
; %bb.565:                              ;   in Loop: Header=BB4_497 Depth=2
	s_trap 2
	ds_read_b64 v[68:69], v0
	v_cmp_eq_u32_e32 vcc_lo, 0, v8
	s_mov_b32 s16, -1
	v_cndmask_b32_e32 v51, 0, v50, vcc_lo
	v_lshlrev_b32_e32 v53, 3, v51
	s_waitcnt lgkmcnt(0)
	v_cmp_ne_u64_e32 vcc_lo, 0, v[68:69]
	s_cbranch_vccz .LBB4_625
; %bb.566:                              ;   in Loop: Header=BB4_497 Depth=2
	s_and_saveexec_b32 s17, s14
	s_cbranch_execz .LBB4_568
; %bb.567:                              ;   in Loop: Header=BB4_497 Depth=2
	ds_read_b32 v2, v0 offset:720
	s_waitcnt lgkmcnt(0)
	v_and_b32_e32 v2, 15, v2
	v_cmp_eq_u32_e32 vcc_lo, 0, v2
	s_orn2_b32 s16, vcc_lo, exec_lo
.LBB4_568:                              ;   in Loop: Header=BB4_497 Depth=2
	s_or_b32 exec_lo, exec_lo, s17
	s_and_saveexec_b32 s17, s14
	s_cbranch_execz .LBB4_570
; %bb.569:                              ;   in Loop: Header=BB4_497 Depth=2
	ds_read_b32 v2, v0 offset:784
	s_waitcnt lgkmcnt(0)
	v_and_b32_e32 v2, 15, v2
	v_cmp_eq_u32_e32 vcc_lo, 0, v2
	s_and_b32 s18, s16, vcc_lo
	s_andn2_b32 s16, s16, exec_lo
	s_and_b32 s18, s18, exec_lo
	s_or_b32 s16, s16, s18
.LBB4_570:                              ;   in Loop: Header=BB4_497 Depth=2
	s_or_b32 exec_lo, exec_lo, s17
	s_xor_b32 s16, s16, -1
	v_cndmask_b32_e64 v2, 0, 1, s16
	s_mov_b32 s16, -1
	v_cmp_ne_u32_e32 vcc_lo, 0, v2
	s_cbranch_vccz .LBB4_580
; %bb.571:                              ;   in Loop: Header=BB4_497 Depth=2
	v_alignbit_b32 v2, v68, v68, 1
	s_mov_b32 s77, -1
	v_readfirstlane_b32 s16, v2
	v_readfirstlane_b32 s76, v2
	s_and_b32 s22, s16, 0x7fffffff
	s_mov_b64 s[20:21], s[22:23]
	v_mov_b32_e32 v44, 0
	s_cbranch_execnz .LBB4_581
.LBB4_572:                              ;   in Loop: Header=BB4_497 Depth=2
	v_alignbit_b32 v2, v68, v68, 1
	v_mov_b32_e32 v8, -1
	v_mov_b32_e32 v9, -1
	v_readfirstlane_b32 s16, v2
	v_readfirstlane_b32 s76, v2
	s_and_b32 s22, s16, 0x7fffffff
	s_cmp_lt_i32 s22, 1
	s_cbranch_scc1 .LBB4_584
; %bb.573:                              ;   in Loop: Header=BB4_497 Depth=2
	s_cmp_lg_u32 s22, 1
	s_cbranch_scc1 .LBB4_582
; %bb.574:                              ;   in Loop: Header=BB4_497 Depth=2
	s_mov_b32 s24, s23
	s_mov_b64 s[18:19], 1
	s_mov_b64 s[16:17], s[24:25]
	s_branch .LBB4_583
.LBB4_575:                              ;   in Loop: Header=BB4_497 Depth=2
	s_mov_b32 s16, 0
	s_and_saveexec_b32 s17, s6
	s_cbranch_execnz .LBB4_677
.LBB4_576:                              ;   in Loop: Header=BB4_497 Depth=2
	s_or_b32 exec_lo, exec_lo, s17
                                        ; implicit-def: $vgpr2
	s_and_saveexec_b32 s17, s15
	s_xor_b32 s17, exec_lo, s17
	s_cbranch_execz .LBB4_695
.LBB4_577:                              ;   in Loop: Header=BB4_497 Depth=2
	v_and_b32_e32 v2, 16, v85
	v_cmp_ne_u32_e32 vcc_lo, 0, v2
	v_and_b32_e32 v2, 16, v85
	s_and_b32 s18, vcc_lo, s16
	s_and_saveexec_b32 s16, s18
	s_cbranch_execz .LBB4_579
; %bb.578:                              ;   in Loop: Header=BB4_497 Depth=2
	v_mov_b32_e32 v2, 1
	s_waitcnt vmcnt(0) lgkmcnt(0)
	s_waitcnt_vscnt null, 0x0
	buffer_gl1_inv
	buffer_gl0_inv
.LBB4_579:                              ;   in Loop: Header=BB4_497 Depth=2
	s_or_b32 exec_lo, exec_lo, s16
	s_andn2_saveexec_b32 s16, s17
	s_cbranch_execz .LBB4_714
	s_branch .LBB4_696
.LBB4_580:                              ;   in Loop: Header=BB4_497 Depth=2
	s_mov_b32 s77, 0
                                        ; implicit-def: $sgpr76
                                        ; implicit-def: $sgpr20_sgpr21
	v_mov_b32_e32 v44, 0
	s_andn2_b32 vcc_lo, exec_lo, s16
	s_cbranch_vccz .LBB4_572
.LBB4_581:                              ;   in Loop: Header=BB4_497 Depth=2
	v_mov_b32_e32 v45, v53
	v_mov_b32_e32 v2, v0
	v_mov_b32_e32 v46, v96
	s_and_saveexec_b32 s78, s77
	s_cbranch_execnz .LBB4_604
	s_branch .LBB4_624
.LBB4_582:                              ;   in Loop: Header=BB4_497 Depth=2
	s_mov_b64 s[18:19], 3
	s_mov_b64 s[16:17], 0
.LBB4_583:                              ;   in Loop: Header=BB4_497 Depth=2
	v_cmp_lt_u64_e64 s19, s[18:19], s[22:23]
	s_or_b32 s20, s17, 2.0
	s_and_b32 s19, s19, exec_lo
	s_cselect_b32 s19, 0, s22
	s_cselect_b32 s17, s17, s20
	s_sub_i32 s18, s18, s19
	s_mov_b32 s19, s23
	s_lshl_b32 s18, s18, 1
	s_or_b32 s20, s17, 0x20000000
	s_or_b32 s18, s18, 1
	v_cmp_lt_u64_e64 s19, s[18:19], s[22:23]
	s_and_b32 s19, s19, exec_lo
	s_cselect_b32 s19, 0, s22
	s_cselect_b32 s17, s17, s20
	s_cselect_b32 s20, 0, 0
	s_sub_u32 s18, s18, s19
	s_subb_u32 s19, 0, s20
	s_or_b32 s21, s17, 0x10000000
	s_lshl_b64 s[18:19], s[18:19], 1
	s_or_b32 s18, s18, 1
	v_cmp_lt_u64_e64 s20, s[18:19], s[22:23]
	s_and_b32 s20, s20, exec_lo
	s_cselect_b32 s20, 0, s22
	s_cselect_b32 s17, s17, s21
	s_cselect_b32 s21, 0, 0
	s_sub_u32 s18, s18, s20
	s_subb_u32 s19, s19, s21
	s_or_b32 s21, s17, 0x8000000
	s_lshl_b64 s[18:19], s[18:19], 1
	s_or_b32 s18, s18, 1
	v_cmp_lt_u64_e64 s20, s[18:19], s[22:23]
	s_and_b32 s20, s20, exec_lo
	s_cselect_b32 s20, 0, s22
	s_cselect_b32 s17, s17, s21
	s_cselect_b32 s21, 0, 0
	s_sub_u32 s18, s18, s20
	s_subb_u32 s19, s19, s21
	s_or_b32 s21, s17, 0x4000000
	s_lshl_b64 s[18:19], s[18:19], 1
	s_or_b32 s18, s18, 1
	v_cmp_lt_u64_e64 s20, s[18:19], s[22:23]
	s_and_b32 s20, s20, exec_lo
	s_cselect_b32 s20, 0, s22
	s_cselect_b32 s17, s17, s21
	s_cselect_b32 s21, 0, 0
	s_sub_u32 s18, s18, s20
	s_subb_u32 s19, s19, s21
	s_or_b32 s21, s17, 0x2000000
	s_lshl_b64 s[18:19], s[18:19], 1
	s_or_b32 s18, s18, 1
	v_cmp_lt_u64_e64 s20, s[18:19], s[22:23]
	s_and_b32 s20, s20, exec_lo
	s_cselect_b32 s20, 0, s22
	s_cselect_b32 s17, s17, s21
	s_cselect_b32 s21, 0, 0
	s_sub_u32 s18, s18, s20
	s_subb_u32 s19, s19, s21
	s_or_b32 s21, s17, 0x1000000
	s_lshl_b64 s[18:19], s[18:19], 1
	s_or_b32 s18, s18, 1
	v_cmp_lt_u64_e64 s20, s[18:19], s[22:23]
	s_and_b32 s20, s20, exec_lo
	s_cselect_b32 s20, 0, s22
	s_cselect_b32 s17, s17, s21
	s_cselect_b32 s21, 0, 0
	s_sub_u32 s18, s18, s20
	s_subb_u32 s19, s19, s21
	s_or_b32 s21, s17, 0x800000
	s_lshl_b64 s[18:19], s[18:19], 1
	s_or_b32 s18, s18, 1
	v_cmp_lt_u64_e64 s20, s[18:19], s[22:23]
	s_and_b32 s20, s20, exec_lo
	s_cselect_b32 s20, 0, s22
	s_cselect_b32 s17, s17, s21
	s_cselect_b32 s21, 0, 0
	s_sub_u32 s18, s18, s20
	s_subb_u32 s19, s19, s21
	s_or_b32 s21, s17, 0x400000
	s_lshl_b64 s[18:19], s[18:19], 1
	s_or_b32 s18, s18, 1
	v_cmp_lt_u64_e64 s20, s[18:19], s[22:23]
	s_and_b32 s20, s20, exec_lo
	s_cselect_b32 s20, 0, s22
	s_cselect_b32 s17, s17, s21
	s_cselect_b32 s21, 0, 0
	s_sub_u32 s18, s18, s20
	s_subb_u32 s19, s19, s21
	s_or_b32 s21, s17, 0x200000
	s_lshl_b64 s[18:19], s[18:19], 1
	s_or_b32 s18, s18, 1
	v_cmp_lt_u64_e64 s20, s[18:19], s[22:23]
	s_and_b32 s20, s20, exec_lo
	s_cselect_b32 s20, 0, s22
	s_cselect_b32 s17, s17, s21
	s_cselect_b32 s21, 0, 0
	s_sub_u32 s18, s18, s20
	s_subb_u32 s19, s19, s21
	s_or_b32 s21, s17, 0x100000
	s_lshl_b64 s[18:19], s[18:19], 1
	s_or_b32 s18, s18, 1
	v_cmp_lt_u64_e64 s20, s[18:19], s[22:23]
	s_and_b32 s20, s20, exec_lo
	s_cselect_b32 s20, 0, s22
	s_cselect_b32 s17, s17, s21
	s_cselect_b32 s21, 0, 0
	s_sub_u32 s18, s18, s20
	s_subb_u32 s19, s19, s21
	s_or_b32 s21, s17, 0x80000
	s_lshl_b64 s[18:19], s[18:19], 1
	s_or_b32 s18, s18, 1
	v_cmp_lt_u64_e64 s20, s[18:19], s[22:23]
	s_and_b32 s20, s20, exec_lo
	s_cselect_b32 s20, 0, s22
	s_cselect_b32 s17, s17, s21
	s_cselect_b32 s21, 0, 0
	s_sub_u32 s18, s18, s20
	s_subb_u32 s19, s19, s21
	s_or_b32 s21, s17, 0x40000
	s_lshl_b64 s[18:19], s[18:19], 1
	s_or_b32 s18, s18, 1
	v_cmp_lt_u64_e64 s20, s[18:19], s[22:23]
	s_and_b32 s20, s20, exec_lo
	s_cselect_b32 s20, 0, s22
	s_cselect_b32 s17, s17, s21
	s_cselect_b32 s21, 0, 0
	s_sub_u32 s18, s18, s20
	s_subb_u32 s19, s19, s21
	s_or_b32 s21, s17, 0x20000
	s_lshl_b64 s[18:19], s[18:19], 1
	s_or_b32 s18, s18, 1
	v_cmp_lt_u64_e64 s20, s[18:19], s[22:23]
	s_and_b32 s20, s20, exec_lo
	s_cselect_b32 s20, 0, s22
	s_cselect_b32 s17, s17, s21
	s_cselect_b32 s21, 0, 0
	s_sub_u32 s18, s18, s20
	s_subb_u32 s19, s19, s21
	s_or_b32 s21, s17, 0x10000
	s_lshl_b64 s[18:19], s[18:19], 1
	s_or_b32 s18, s18, 1
	v_cmp_lt_u64_e64 s20, s[18:19], s[22:23]
	s_and_b32 s20, s20, exec_lo
	s_cselect_b32 s20, 0, s22
	s_cselect_b32 s17, s17, s21
	s_cselect_b32 s21, 0, 0
	s_sub_u32 s18, s18, s20
	s_subb_u32 s19, s19, s21
	s_or_b32 s21, s17, 0x8000
	s_lshl_b64 s[18:19], s[18:19], 1
	s_or_b32 s18, s18, 1
	v_cmp_lt_u64_e64 s20, s[18:19], s[22:23]
	s_and_b32 s20, s20, exec_lo
	s_cselect_b32 s20, 0, s22
	s_cselect_b32 s17, s17, s21
	s_cselect_b32 s21, 0, 0
	s_sub_u32 s18, s18, s20
	s_subb_u32 s19, s19, s21
	s_or_b32 s21, s17, 0x4000
	s_lshl_b64 s[18:19], s[18:19], 1
	s_or_b32 s18, s18, 1
	v_cmp_lt_u64_e64 s20, s[18:19], s[22:23]
	s_and_b32 s20, s20, exec_lo
	s_cselect_b32 s20, 0, s22
	s_cselect_b32 s17, s17, s21
	s_cselect_b32 s21, 0, 0
	s_sub_u32 s18, s18, s20
	s_subb_u32 s19, s19, s21
	s_or_b32 s21, s17, 0x2000
	s_lshl_b64 s[18:19], s[18:19], 1
	s_or_b32 s18, s18, 1
	v_cmp_lt_u64_e64 s20, s[18:19], s[22:23]
	s_and_b32 s20, s20, exec_lo
	s_cselect_b32 s20, 0, s22
	s_cselect_b32 s17, s17, s21
	s_cselect_b32 s21, 0, 0
	s_sub_u32 s18, s18, s20
	s_subb_u32 s19, s19, s21
	s_or_b32 s21, s17, 0x1000
	s_lshl_b64 s[18:19], s[18:19], 1
	s_or_b32 s18, s18, 1
	v_cmp_lt_u64_e64 s20, s[18:19], s[22:23]
	s_and_b32 s20, s20, exec_lo
	s_cselect_b32 s20, 0, s22
	s_cselect_b32 s17, s17, s21
	s_cselect_b32 s21, 0, 0
	s_sub_u32 s18, s18, s20
	s_subb_u32 s19, s19, s21
	s_or_b32 s21, s17, 0x800
	s_lshl_b64 s[18:19], s[18:19], 1
	s_or_b32 s18, s18, 1
	v_cmp_lt_u64_e64 s20, s[18:19], s[22:23]
	s_and_b32 s20, s20, exec_lo
	s_cselect_b32 s20, 0, s22
	s_cselect_b32 s17, s17, s21
	s_cselect_b32 s21, 0, 0
	s_sub_u32 s18, s18, s20
	s_subb_u32 s19, s19, s21
	s_or_b32 s21, s17, 0x400
	s_lshl_b64 s[18:19], s[18:19], 1
	s_or_b32 s18, s18, 1
	v_cmp_lt_u64_e64 s20, s[18:19], s[22:23]
	s_and_b32 s20, s20, exec_lo
	s_cselect_b32 s20, 0, s22
	s_cselect_b32 s17, s17, s21
	s_cselect_b32 s21, 0, 0
	s_sub_u32 s18, s18, s20
	s_subb_u32 s19, s19, s21
	s_or_b32 s21, s17, 0x200
	s_lshl_b64 s[18:19], s[18:19], 1
	s_or_b32 s18, s18, 1
	v_cmp_lt_u64_e64 s20, s[18:19], s[22:23]
	s_and_b32 s20, s20, exec_lo
	s_cselect_b32 s20, 0, s22
	s_cselect_b32 s17, s17, s21
	s_cselect_b32 s21, 0, 0
	s_sub_u32 s18, s18, s20
	s_subb_u32 s19, s19, s21
	s_or_b32 s21, s17, 0x100
	s_lshl_b64 s[18:19], s[18:19], 1
	s_or_b32 s18, s18, 1
	v_cmp_lt_u64_e64 s20, s[18:19], s[22:23]
	s_and_b32 s20, s20, exec_lo
	s_cselect_b32 s20, 0, s22
	s_cselect_b32 s17, s17, s21
	s_cselect_b32 s21, 0, 0
	s_sub_u32 s18, s18, s20
	s_subb_u32 s19, s19, s21
	s_or_b32 s21, s17, 0x80
	s_lshl_b64 s[18:19], s[18:19], 1
	s_or_b32 s18, s18, 1
	v_cmp_lt_u64_e64 s20, s[18:19], s[22:23]
	s_and_b32 s20, s20, exec_lo
	s_cselect_b32 s20, 0, s22
	s_cselect_b32 s17, s17, s21
	s_cselect_b32 s21, 0, 0
	s_sub_u32 s18, s18, s20
	s_subb_u32 s19, s19, s21
	s_or_b32 s21, s17, 64
	s_lshl_b64 s[18:19], s[18:19], 1
	s_or_b32 s18, s18, 1
	v_cmp_lt_u64_e64 s20, s[18:19], s[22:23]
	s_and_b32 s20, s20, exec_lo
	s_cselect_b32 s20, 0, s22
	s_cselect_b32 s17, s17, s21
	s_cselect_b32 s21, 0, 0
	s_sub_u32 s18, s18, s20
	s_subb_u32 s19, s19, s21
	s_or_b32 s21, s17, 32
	s_lshl_b64 s[18:19], s[18:19], 1
	s_or_b32 s18, s18, 1
	v_cmp_lt_u64_e64 s20, s[18:19], s[22:23]
	s_and_b32 s20, s20, exec_lo
	s_cselect_b32 s20, 0, s22
	s_cselect_b32 s17, s17, s21
	s_cselect_b32 s21, 0, 0
	s_sub_u32 s18, s18, s20
	s_subb_u32 s19, s19, s21
	s_or_b32 s21, s17, 16
	s_lshl_b64 s[18:19], s[18:19], 1
	s_or_b32 s18, s18, 1
	v_cmp_lt_u64_e64 s20, s[18:19], s[22:23]
	s_and_b32 s20, s20, exec_lo
	s_cselect_b32 s20, 0, s22
	s_cselect_b32 s17, s17, s21
	s_cselect_b32 s21, 0, 0
	s_sub_u32 s18, s18, s20
	s_subb_u32 s19, s19, s21
	s_or_b32 s21, s17, 8
	s_lshl_b64 s[18:19], s[18:19], 1
	s_or_b32 s18, s18, 1
	v_cmp_lt_u64_e64 s20, s[18:19], s[22:23]
	s_and_b32 s20, s20, exec_lo
	s_cselect_b32 s20, 0, s22
	s_cselect_b32 s17, s17, s21
	s_cselect_b32 s21, 0, 0
	s_sub_u32 s18, s18, s20
	s_subb_u32 s19, s19, s21
	s_or_b32 s21, s17, 4
	s_lshl_b64 s[18:19], s[18:19], 1
	s_or_b32 s18, s18, 1
	v_cmp_lt_u64_e64 s20, s[18:19], s[22:23]
	s_and_b32 s20, s20, exec_lo
	s_cselect_b32 s20, 0, s22
	s_cselect_b32 s17, s17, s21
	s_cselect_b32 s21, 0, 0
	s_sub_u32 s18, s18, s20
	s_subb_u32 s19, s19, s21
	s_or_b32 s21, s17, 2
	s_lshl_b64 s[18:19], s[18:19], 1
	s_or_b32 s18, s18, 1
	v_cmp_lt_u64_e64 s20, s[18:19], s[22:23]
	s_and_b32 s20, s20, exec_lo
	s_cselect_b32 s20, 0, s22
	s_cselect_b32 s17, s17, s21
	s_cselect_b32 s21, 0, 0
	s_sub_u32 s18, s18, s20
	s_subb_u32 s19, s19, s21
	s_or_b32 s21, s17, 1
	s_lshl_b64 s[18:19], s[18:19], 1
	s_or_b32 s18, s18, 1
	v_cmp_lt_u64_e64 s20, s[18:19], s[22:23]
	s_and_b32 s20, s20, exec_lo
	s_cselect_b32 s20, 0, s22
	s_cselect_b32 s17, s17, s21
	s_cselect_b32 s21, 0, 0
	s_sub_u32 s18, s18, s20
	s_subb_u32 s19, s19, s21
	s_or_b32 s21, s16, 0x80000000
	s_lshl_b64 s[18:19], s[18:19], 1
	v_mov_b32_e32 v9, s17
	s_or_b32 s18, s18, 1
	v_cmp_lt_u64_e64 s20, s[18:19], s[22:23]
	s_and_b32 s20, s20, exec_lo
	s_cselect_b32 s20, 0, s22
	s_cselect_b32 s16, s16, s21
	;; [unrolled: 1-line block ×3, first 2 shown]
	s_sub_u32 s18, s18, s20
	s_subb_u32 s19, s19, s21
	s_or_b32 s21, s16, 2.0
	s_lshl_b64 s[18:19], s[18:19], 1
	s_or_b32 s18, s18, 1
	v_cmp_lt_u64_e64 s20, s[18:19], s[22:23]
	s_and_b32 s20, s20, exec_lo
	s_cselect_b32 s20, 0, s22
	s_cselect_b32 s16, s16, s21
	s_cselect_b32 s21, 0, 0
	s_sub_u32 s18, s18, s20
	s_subb_u32 s19, s19, s21
	s_or_b32 s21, s16, 0x20000000
	s_lshl_b64 s[18:19], s[18:19], 1
	s_or_b32 s18, s18, 1
	v_cmp_lt_u64_e64 s20, s[18:19], s[22:23]
	s_and_b32 s20, s20, exec_lo
	s_cselect_b32 s20, 0, s22
	s_cselect_b32 s16, s16, s21
	s_cselect_b32 s21, 0, 0
	s_sub_u32 s18, s18, s20
	s_subb_u32 s19, s19, s21
	s_or_b32 s21, s16, 0x10000000
	;; [unrolled: 10-line block ×29, first 2 shown]
	s_lshl_b64 s[18:19], s[18:19], 1
	s_or_b32 s18, s18, 1
	v_cmp_lt_u64_e64 s20, s[18:19], s[22:23]
	s_and_b32 s20, s20, exec_lo
	s_cselect_b32 s20, 0, s22
	s_cselect_b32 s16, s16, s21
	;; [unrolled: 1-line block ×3, first 2 shown]
	s_sub_u32 s18, s18, s20
	s_subb_u32 s19, s19, s21
	s_lshl_b64 s[18:19], s[18:19], 1
	s_or_b32 s18, s18, 1
	v_cmp_ge_u64_e64 s18, s[18:19], s[22:23]
	v_cndmask_b32_e64 v2, 0, 1, s18
	v_or_b32_e32 v8, s16, v2
.LBB4_584:                              ;   in Loop: Header=BB4_497 Depth=2
	v_ashrrev_i32_e32 v2, 31, v53
	s_mov_b32 s24, exec_lo
	v_lshrrev_b32_e32 v2, 22, v2
	v_add_nc_u32_e32 v2, v53, v2
	v_ashrrev_i32_e32 v44, 10, v2
	v_sub_nc_u32_e32 v47, v44, v97
	v_cmpx_lt_i32_e32 0, v47
	s_cbranch_execz .LBB4_588
; %bb.585:                              ;   in Loop: Header=BB4_497 Depth=2
	s_trap 2
	ds_read_b64 v[80:81], v0
	v_add_co_u32 v10, vcc_lo, v64, v113
	v_add_co_ci_u32_e64 v11, null, 0, v65, vcc_lo
	v_add_co_u32 v70, vcc_lo, v66, v113
	v_add_co_ci_u32_e64 v71, null, 0, v67, vcc_lo
	s_cmp_lt_i32 s76, 0
	s_mov_b32 s78, 0
	s_cselect_b32 s79, -1, 0
	s_waitcnt lgkmcnt(0)
	v_add_co_u32 v80, vcc_lo, v80, v113
	v_add_co_ci_u32_e64 v81, null, 0, v81, vcc_lo
	v_add_co_u32 v82, vcc_lo, v68, v113
	v_add_co_ci_u32_e64 v83, null, 0, v69, vcc_lo
.LBB4_586:                              ;   Parent Loop BB4_47 Depth=1
                                        ;     Parent Loop BB4_497 Depth=2
                                        ; =>    This Inner Loop Header: Depth=3
	global_load_dwordx4 v[56:59], v[80:81], off slc
	s_clause 0x1
	global_load_dwordx4 v[60:63], v[10:11], off slc
	global_load_dwordx4 v[72:75], v[10:11], off offset:512 slc
	global_load_dwordx4 v[76:79], v[80:81], off offset:512 slc
	v_mov_b32_e32 v46, v3
	v_mov_b32_e32 v89, v3
	v_sub_nc_u32_e32 v47, v47, v87
	v_mov_b32_e32 v90, v3
	v_mov_b32_e32 v91, v3
	v_add_co_u32 v10, vcc_lo, v10, v112
	v_add_co_ci_u32_e64 v11, null, 0, v11, vcc_lo
	v_add_co_u32 v80, vcc_lo, v80, v112
	v_add_co_ci_u32_e64 v81, null, 0, v81, vcc_lo
	v_cmp_gt_i32_e32 vcc_lo, 1, v47
	s_waitcnt vmcnt(2)
	v_add_co_u32 v56, s16, v56, v60
	v_add_co_ci_u32_e64 v57, null, v57, v61, s16
	v_add_co_u32 v58, s16, v58, v62
	v_add_co_ci_u32_e64 v59, null, v59, v63, s16
	s_waitcnt vmcnt(0)
	v_add_co_u32 v60, s16, v76, v72
	v_add_co_ci_u32_e64 v61, null, v77, v73, s16
	v_add_co_u32 v62, s16, v78, v74
	v_add_co_ci_u32_e64 v63, null, v79, v75, s16
	v_sub_co_u32 v74, s19, 0, v60
	v_cmp_gt_i64_e64 s16, 0, v[56:57]
	v_sub_co_ci_u32_e64 v75, null, 0, v61, s19
	v_cmp_gt_i64_e64 s19, 0, v[62:63]
	v_sub_co_u32 v76, s20, 0, v62
	v_sub_co_u32 v2, s17, 0, v56
	v_sub_co_ci_u32_e64 v77, null, 0, v63, s20
	s_and_b32 s16, s79, s16
	s_and_b32 s19, s79, s19
	v_sub_co_ci_u32_e64 v45, null, 0, v57, s17
	v_cndmask_b32_e64 v77, v63, v77, s19
	v_cndmask_b32_e64 v63, v56, v2, s16
	v_cmp_gt_i64_e64 s17, 0, v[58:59]
	v_cndmask_b32_e64 v78, v57, v45, s16
	v_sub_co_u32 v72, s18, 0, v58
	v_mul_hi_u32 v2, v63, v8
	v_sub_co_ci_u32_e64 v73, null, 0, v59, s18
	s_and_b32 s17, s79, s17
	v_cndmask_b32_e64 v76, v62, v76, s19
	v_cndmask_b32_e64 v72, v58, v72, s17
	v_cndmask_b32_e64 v73, v59, v73, s17
	v_cmp_gt_i64_e64 s18, 0, v[60:61]
	v_mad_u64_u32 v[56:57], null, v78, v8, v[2:3]
	s_and_b32 s18, s79, s18
	s_or_b32 s78, vcc_lo, s78
	v_cndmask_b32_e64 v74, v60, v74, s18
	v_mov_b32_e32 v2, v56
	v_mov_b32_e32 v45, v57
	v_cndmask_b32_e64 v75, v61, v75, s18
	v_mad_u64_u32 v[56:57], null, v63, v9, v[2:3]
	v_mad_u64_u32 v[45:46], null, v78, v9, v[45:46]
	v_mul_hi_u32 v2, v72, v8
	v_add_co_u32 v62, s20, v45, v57
	v_mad_u64_u32 v[56:57], null, v73, v8, v[2:3]
	v_add_co_ci_u32_e64 v79, null, 0, v46, s20
	v_mad_u64_u32 v[45:46], null, v62, s22, 0
	v_mov_b32_e32 v2, v56
	v_mov_b32_e32 v88, v57
	v_mad_u64_u32 v[60:61], null, v79, s22, v[46:47]
	v_mad_u64_u32 v[56:57], null, v72, v9, v[2:3]
	;; [unrolled: 1-line block ×3, first 2 shown]
	v_mul_hi_u32 v2, v74, v8
	v_sub_co_u32 v45, s20, v63, v45
	v_sub_co_ci_u32_e64 v46, null, v78, v60, s20
	v_add_co_u32 v88, s21, v58, v57
	v_mad_u64_u32 v[56:57], null, v75, v8, v[2:3]
	v_add_co_ci_u32_e64 v92, null, 0, v59, s21
	v_mad_u64_u32 v[58:59], null, v88, s22, 0
	v_cmp_le_u64_e64 s20, s[22:23], v[45:46]
	v_mov_b32_e32 v2, v56
	v_mov_b32_e32 v89, v57
	v_cndmask_b32_e64 v46, 0, 1, s20
	v_mov_b32_e32 v45, v59
	v_mad_u64_u32 v[56:57], null, v74, v9, v[2:3]
	v_mad_u64_u32 v[59:60], null, v75, v9, v[89:90]
	v_add_co_u32 v56, s20, v62, v46
	v_mad_u64_u32 v[45:46], null, v92, s22, v[45:46]
	v_mul_hi_u32 v2, v76, v8
	v_add_co_ci_u32_e64 v62, null, 0, v79, s20
	v_sub_co_u32 v58, s20, v72, v58
	v_sub_co_u32 v46, s21, 0, v56
	v_sub_co_ci_u32_e64 v63, null, 0, v62, s21
	v_add_co_u32 v72, s21, v59, v57
	v_sub_co_ci_u32_e64 v59, null, v73, v45, s20
	v_add_co_ci_u32_e64 v78, null, 0, v60, s21
	v_mad_u64_u32 v[60:61], null, v77, v8, v[2:3]
	v_cndmask_b32_e64 v57, v62, v63, s16
	v_cndmask_b32_e64 v56, v56, v46, s16
	v_cmp_le_u64_e64 s16, s[22:23], v[58:59]
	v_mad_u64_u32 v[62:63], null, v72, s22, 0
	v_mov_b32_e32 v2, v60
	v_mov_b32_e32 v90, v61
	v_cndmask_b32_e64 v46, 0, 1, s16
	v_mov_b32_e32 v45, v63
	v_mad_u64_u32 v[58:59], null, v76, v9, v[2:3]
	v_add_co_u32 v2, s16, v88, v46
	v_add_co_ci_u32_e64 v58, null, 0, v92, s16
	v_mad_u64_u32 v[60:61], null, v77, v9, v[90:91]
	v_mad_u64_u32 v[45:46], null, v78, s22, v[45:46]
	v_sub_co_u32 v46, s20, 0, v2
	v_sub_co_ci_u32_e64 v63, null, 0, v58, s20
	v_sub_co_u32 v62, s16, v74, v62
	v_add_co_u32 v73, s20, v60, v59
	v_cndmask_b32_e64 v59, v58, v63, s17
	v_sub_co_ci_u32_e64 v63, null, v75, v45, s16
	v_cndmask_b32_e64 v58, v2, v46, s17
	v_mad_u64_u32 v[45:46], null, v73, s22, 0
	v_cmp_le_u64_e64 s16, s[22:23], v[62:63]
	v_add_co_ci_u32_e64 v74, null, 0, v61, s20
	global_store_dwordx4 v[70:71], v[56:59], off glc slc
	v_cndmask_b32_e64 v60, 0, 1, s16
	v_mov_b32_e32 v2, v46
	v_add_co_u32 v46, s16, v72, v60
	v_add_co_ci_u32_e64 v60, null, 0, v78, s16
	v_mad_u64_u32 v[62:63], null, v74, s22, v[2:3]
	v_sub_co_u32 v2, s17, 0, v46
	v_sub_co_ci_u32_e64 v61, null, 0, v60, s17
	v_sub_co_u32 v45, s16, v76, v45
	v_cndmask_b32_e64 v61, v60, v61, s18
	v_cndmask_b32_e64 v60, v46, v2, s18
	v_sub_co_ci_u32_e64 v46, null, v77, v62, s16
	v_cmp_le_u64_e64 s16, s[22:23], v[45:46]
	v_cndmask_b32_e64 v2, 0, 1, s16
	v_add_co_u32 v2, s16, v73, v2
	v_add_co_ci_u32_e64 v45, null, 0, v74, s16
	v_sub_co_u32 v46, s16, 0, v2
	v_sub_co_ci_u32_e64 v62, null, 0, v45, s16
	v_cndmask_b32_e64 v63, v45, v62, s19
	v_cndmask_b32_e64 v62, v2, v46, s19
	global_store_dwordx4 v[70:71], v[60:63], off offset:512 glc slc
	global_store_dwordx4 v[82:83], v[56:59], off glc slc
	global_store_dwordx4 v[82:83], v[60:63], off offset:512 glc slc
	v_add_co_u32 v70, s16, v70, v112
	v_add_co_ci_u32_e64 v71, null, 0, v71, s16
	v_add_co_u32 v82, s16, v82, v112
	v_add_co_ci_u32_e64 v83, null, 0, v83, s16
	s_andn2_b32 exec_lo, exec_lo, s78
	s_cbranch_execnz .LBB4_586
; %bb.587:                              ;   in Loop: Header=BB4_497 Depth=2
	s_or_b32 exec_lo, exec_lo, s78
.LBB4_588:                              ;   in Loop: Header=BB4_497 Depth=2
	s_or_b32 exec_lo, exec_lo, s24
	v_lshlrev_b32_e32 v56, 10, v44
	s_mov_b32 s78, exec_lo
                                        ; implicit-def: $vgpr45
                                        ; implicit-def: $vgpr44
                                        ; implicit-def: $vgpr2
                                        ; implicit-def: $vgpr46
	v_cmpx_ne_u32_e64 v53, v56
	s_cbranch_execz .LBB4_603
; %bb.589:                              ;   in Loop: Header=BB4_497 Depth=2
	v_mov_b32_e32 v70, -1
	v_mov_b32_e32 v71, -1
	s_cmp_lt_i32 s22, 1
	s_cbranch_scc1 .LBB4_594
; %bb.590:                              ;   in Loop: Header=BB4_497 Depth=2
	s_cmp_lg_u32 s22, 1
	s_cbranch_scc1 .LBB4_592
; %bb.591:                              ;   in Loop: Header=BB4_497 Depth=2
	s_mov_b32 s24, s23
	s_mov_b64 s[18:19], 1
	s_mov_b64 s[16:17], s[24:25]
	s_branch .LBB4_593
.LBB4_592:                              ;   in Loop: Header=BB4_497 Depth=2
	s_mov_b64 s[18:19], 3
	s_mov_b64 s[16:17], 0
.LBB4_593:                              ;   in Loop: Header=BB4_497 Depth=2
	v_cmp_lt_u64_e64 s19, s[18:19], s[22:23]
	s_or_b32 s20, s17, 2.0
	s_and_b32 s19, s19, exec_lo
	s_cselect_b32 s19, 0, s22
	s_cselect_b32 s17, s17, s20
	s_sub_i32 s18, s18, s19
	s_mov_b32 s19, s23
	s_lshl_b32 s18, s18, 1
	s_or_b32 s20, s17, 0x20000000
	s_or_b32 s18, s18, 1
	v_cmp_lt_u64_e64 s19, s[18:19], s[22:23]
	s_and_b32 s19, s19, exec_lo
	s_cselect_b32 s19, 0, s22
	s_cselect_b32 s17, s17, s20
	s_cselect_b32 s20, 0, 0
	s_sub_u32 s18, s18, s19
	s_subb_u32 s19, 0, s20
	s_or_b32 s21, s17, 0x10000000
	s_lshl_b64 s[18:19], s[18:19], 1
	s_or_b32 s18, s18, 1
	v_cmp_lt_u64_e64 s20, s[18:19], s[22:23]
	s_and_b32 s20, s20, exec_lo
	s_cselect_b32 s20, 0, s22
	s_cselect_b32 s17, s17, s21
	s_cselect_b32 s21, 0, 0
	s_sub_u32 s18, s18, s20
	s_subb_u32 s19, s19, s21
	s_or_b32 s21, s17, 0x8000000
	s_lshl_b64 s[18:19], s[18:19], 1
	;; [unrolled: 10-line block ×30, first 2 shown]
	v_mov_b32_e32 v71, s17
	s_or_b32 s18, s18, 1
	v_cmp_lt_u64_e64 s20, s[18:19], s[22:23]
	s_and_b32 s20, s20, exec_lo
	s_cselect_b32 s20, 0, s22
	s_cselect_b32 s16, s16, s21
	;; [unrolled: 1-line block ×3, first 2 shown]
	s_sub_u32 s18, s18, s20
	s_subb_u32 s19, s19, s21
	s_or_b32 s21, s16, 2.0
	s_lshl_b64 s[18:19], s[18:19], 1
	s_or_b32 s18, s18, 1
	v_cmp_lt_u64_e64 s20, s[18:19], s[22:23]
	s_and_b32 s20, s20, exec_lo
	s_cselect_b32 s20, 0, s22
	s_cselect_b32 s16, s16, s21
	s_cselect_b32 s21, 0, 0
	s_sub_u32 s18, s18, s20
	s_subb_u32 s19, s19, s21
	s_or_b32 s21, s16, 0x20000000
	s_lshl_b64 s[18:19], s[18:19], 1
	s_or_b32 s18, s18, 1
	v_cmp_lt_u64_e64 s20, s[18:19], s[22:23]
	s_and_b32 s20, s20, exec_lo
	s_cselect_b32 s20, 0, s22
	s_cselect_b32 s16, s16, s21
	s_cselect_b32 s21, 0, 0
	s_sub_u32 s18, s18, s20
	s_subb_u32 s19, s19, s21
	s_or_b32 s21, s16, 0x10000000
	s_lshl_b64 s[18:19], s[18:19], 1
	s_or_b32 s18, s18, 1
	v_cmp_lt_u64_e64 s20, s[18:19], s[22:23]
	s_and_b32 s20, s20, exec_lo
	s_cselect_b32 s20, 0, s22
	s_cselect_b32 s16, s16, s21
	s_cselect_b32 s21, 0, 0
	s_sub_u32 s18, s18, s20
	s_subb_u32 s19, s19, s21
	s_or_b32 s21, s16, 0x8000000
	s_lshl_b64 s[18:19], s[18:19], 1
	s_or_b32 s18, s18, 1
	v_cmp_lt_u64_e64 s20, s[18:19], s[22:23]
	s_and_b32 s20, s20, exec_lo
	s_cselect_b32 s20, 0, s22
	s_cselect_b32 s16, s16, s21
	s_cselect_b32 s21, 0, 0
	s_sub_u32 s18, s18, s20
	s_subb_u32 s19, s19, s21
	s_or_b32 s21, s16, 0x4000000
	s_lshl_b64 s[18:19], s[18:19], 1
	s_or_b32 s18, s18, 1
	v_cmp_lt_u64_e64 s20, s[18:19], s[22:23]
	s_and_b32 s20, s20, exec_lo
	s_cselect_b32 s20, 0, s22
	s_cselect_b32 s16, s16, s21
	s_cselect_b32 s21, 0, 0
	s_sub_u32 s18, s18, s20
	s_subb_u32 s19, s19, s21
	s_or_b32 s21, s16, 0x2000000
	s_lshl_b64 s[18:19], s[18:19], 1
	s_or_b32 s18, s18, 1
	v_cmp_lt_u64_e64 s20, s[18:19], s[22:23]
	s_and_b32 s20, s20, exec_lo
	s_cselect_b32 s20, 0, s22
	s_cselect_b32 s16, s16, s21
	s_cselect_b32 s21, 0, 0
	s_sub_u32 s18, s18, s20
	s_subb_u32 s19, s19, s21
	s_or_b32 s21, s16, 0x1000000
	s_lshl_b64 s[18:19], s[18:19], 1
	s_or_b32 s18, s18, 1
	v_cmp_lt_u64_e64 s20, s[18:19], s[22:23]
	s_and_b32 s20, s20, exec_lo
	s_cselect_b32 s20, 0, s22
	s_cselect_b32 s16, s16, s21
	s_cselect_b32 s21, 0, 0
	s_sub_u32 s18, s18, s20
	s_subb_u32 s19, s19, s21
	s_or_b32 s21, s16, 0x800000
	s_lshl_b64 s[18:19], s[18:19], 1
	s_or_b32 s18, s18, 1
	v_cmp_lt_u64_e64 s20, s[18:19], s[22:23]
	s_and_b32 s20, s20, exec_lo
	s_cselect_b32 s20, 0, s22
	s_cselect_b32 s16, s16, s21
	s_cselect_b32 s21, 0, 0
	s_sub_u32 s18, s18, s20
	s_subb_u32 s19, s19, s21
	s_or_b32 s21, s16, 0x400000
	s_lshl_b64 s[18:19], s[18:19], 1
	s_or_b32 s18, s18, 1
	v_cmp_lt_u64_e64 s20, s[18:19], s[22:23]
	s_and_b32 s20, s20, exec_lo
	s_cselect_b32 s20, 0, s22
	s_cselect_b32 s16, s16, s21
	s_cselect_b32 s21, 0, 0
	s_sub_u32 s18, s18, s20
	s_subb_u32 s19, s19, s21
	s_or_b32 s21, s16, 0x200000
	s_lshl_b64 s[18:19], s[18:19], 1
	s_or_b32 s18, s18, 1
	v_cmp_lt_u64_e64 s20, s[18:19], s[22:23]
	s_and_b32 s20, s20, exec_lo
	s_cselect_b32 s20, 0, s22
	s_cselect_b32 s16, s16, s21
	s_cselect_b32 s21, 0, 0
	s_sub_u32 s18, s18, s20
	s_subb_u32 s19, s19, s21
	s_or_b32 s21, s16, 0x100000
	s_lshl_b64 s[18:19], s[18:19], 1
	s_or_b32 s18, s18, 1
	v_cmp_lt_u64_e64 s20, s[18:19], s[22:23]
	s_and_b32 s20, s20, exec_lo
	s_cselect_b32 s20, 0, s22
	s_cselect_b32 s16, s16, s21
	s_cselect_b32 s21, 0, 0
	s_sub_u32 s18, s18, s20
	s_subb_u32 s19, s19, s21
	s_or_b32 s21, s16, 0x80000
	s_lshl_b64 s[18:19], s[18:19], 1
	s_or_b32 s18, s18, 1
	v_cmp_lt_u64_e64 s20, s[18:19], s[22:23]
	s_and_b32 s20, s20, exec_lo
	s_cselect_b32 s20, 0, s22
	s_cselect_b32 s16, s16, s21
	s_cselect_b32 s21, 0, 0
	s_sub_u32 s18, s18, s20
	s_subb_u32 s19, s19, s21
	s_or_b32 s21, s16, 0x40000
	s_lshl_b64 s[18:19], s[18:19], 1
	s_or_b32 s18, s18, 1
	v_cmp_lt_u64_e64 s20, s[18:19], s[22:23]
	s_and_b32 s20, s20, exec_lo
	s_cselect_b32 s20, 0, s22
	s_cselect_b32 s16, s16, s21
	s_cselect_b32 s21, 0, 0
	s_sub_u32 s18, s18, s20
	s_subb_u32 s19, s19, s21
	s_or_b32 s21, s16, 0x20000
	s_lshl_b64 s[18:19], s[18:19], 1
	s_or_b32 s18, s18, 1
	v_cmp_lt_u64_e64 s20, s[18:19], s[22:23]
	s_and_b32 s20, s20, exec_lo
	s_cselect_b32 s20, 0, s22
	s_cselect_b32 s16, s16, s21
	s_cselect_b32 s21, 0, 0
	s_sub_u32 s18, s18, s20
	s_subb_u32 s19, s19, s21
	s_or_b32 s21, s16, 0x10000
	s_lshl_b64 s[18:19], s[18:19], 1
	s_or_b32 s18, s18, 1
	v_cmp_lt_u64_e64 s20, s[18:19], s[22:23]
	s_and_b32 s20, s20, exec_lo
	s_cselect_b32 s20, 0, s22
	s_cselect_b32 s16, s16, s21
	s_cselect_b32 s21, 0, 0
	s_sub_u32 s18, s18, s20
	s_subb_u32 s19, s19, s21
	s_or_b32 s21, s16, 0x8000
	s_lshl_b64 s[18:19], s[18:19], 1
	s_or_b32 s18, s18, 1
	v_cmp_lt_u64_e64 s20, s[18:19], s[22:23]
	s_and_b32 s20, s20, exec_lo
	s_cselect_b32 s20, 0, s22
	s_cselect_b32 s16, s16, s21
	s_cselect_b32 s21, 0, 0
	s_sub_u32 s18, s18, s20
	s_subb_u32 s19, s19, s21
	s_or_b32 s21, s16, 0x4000
	s_lshl_b64 s[18:19], s[18:19], 1
	s_or_b32 s18, s18, 1
	v_cmp_lt_u64_e64 s20, s[18:19], s[22:23]
	s_and_b32 s20, s20, exec_lo
	s_cselect_b32 s20, 0, s22
	s_cselect_b32 s16, s16, s21
	s_cselect_b32 s21, 0, 0
	s_sub_u32 s18, s18, s20
	s_subb_u32 s19, s19, s21
	s_or_b32 s21, s16, 0x2000
	s_lshl_b64 s[18:19], s[18:19], 1
	s_or_b32 s18, s18, 1
	v_cmp_lt_u64_e64 s20, s[18:19], s[22:23]
	s_and_b32 s20, s20, exec_lo
	s_cselect_b32 s20, 0, s22
	s_cselect_b32 s16, s16, s21
	s_cselect_b32 s21, 0, 0
	s_sub_u32 s18, s18, s20
	s_subb_u32 s19, s19, s21
	s_or_b32 s21, s16, 0x1000
	s_lshl_b64 s[18:19], s[18:19], 1
	s_or_b32 s18, s18, 1
	v_cmp_lt_u64_e64 s20, s[18:19], s[22:23]
	s_and_b32 s20, s20, exec_lo
	s_cselect_b32 s20, 0, s22
	s_cselect_b32 s16, s16, s21
	s_cselect_b32 s21, 0, 0
	s_sub_u32 s18, s18, s20
	s_subb_u32 s19, s19, s21
	s_or_b32 s21, s16, 0x800
	s_lshl_b64 s[18:19], s[18:19], 1
	s_or_b32 s18, s18, 1
	v_cmp_lt_u64_e64 s20, s[18:19], s[22:23]
	s_and_b32 s20, s20, exec_lo
	s_cselect_b32 s20, 0, s22
	s_cselect_b32 s16, s16, s21
	s_cselect_b32 s21, 0, 0
	s_sub_u32 s18, s18, s20
	s_subb_u32 s19, s19, s21
	s_or_b32 s21, s16, 0x400
	s_lshl_b64 s[18:19], s[18:19], 1
	s_or_b32 s18, s18, 1
	v_cmp_lt_u64_e64 s20, s[18:19], s[22:23]
	s_and_b32 s20, s20, exec_lo
	s_cselect_b32 s20, 0, s22
	s_cselect_b32 s16, s16, s21
	s_cselect_b32 s21, 0, 0
	s_sub_u32 s18, s18, s20
	s_subb_u32 s19, s19, s21
	s_or_b32 s21, s16, 0x200
	s_lshl_b64 s[18:19], s[18:19], 1
	s_or_b32 s18, s18, 1
	v_cmp_lt_u64_e64 s20, s[18:19], s[22:23]
	s_and_b32 s20, s20, exec_lo
	s_cselect_b32 s20, 0, s22
	s_cselect_b32 s16, s16, s21
	s_cselect_b32 s21, 0, 0
	s_sub_u32 s18, s18, s20
	s_subb_u32 s19, s19, s21
	s_or_b32 s21, s16, 0x100
	s_lshl_b64 s[18:19], s[18:19], 1
	s_or_b32 s18, s18, 1
	v_cmp_lt_u64_e64 s20, s[18:19], s[22:23]
	s_and_b32 s20, s20, exec_lo
	s_cselect_b32 s20, 0, s22
	s_cselect_b32 s16, s16, s21
	s_cselect_b32 s21, 0, 0
	s_sub_u32 s18, s18, s20
	s_subb_u32 s19, s19, s21
	s_or_b32 s21, s16, 0x80
	s_lshl_b64 s[18:19], s[18:19], 1
	s_or_b32 s18, s18, 1
	v_cmp_lt_u64_e64 s20, s[18:19], s[22:23]
	s_and_b32 s20, s20, exec_lo
	s_cselect_b32 s20, 0, s22
	s_cselect_b32 s16, s16, s21
	s_cselect_b32 s21, 0, 0
	s_sub_u32 s18, s18, s20
	s_subb_u32 s19, s19, s21
	s_or_b32 s21, s16, 64
	s_lshl_b64 s[18:19], s[18:19], 1
	s_or_b32 s18, s18, 1
	v_cmp_lt_u64_e64 s20, s[18:19], s[22:23]
	s_and_b32 s20, s20, exec_lo
	s_cselect_b32 s20, 0, s22
	s_cselect_b32 s16, s16, s21
	s_cselect_b32 s21, 0, 0
	s_sub_u32 s18, s18, s20
	s_subb_u32 s19, s19, s21
	s_or_b32 s21, s16, 32
	s_lshl_b64 s[18:19], s[18:19], 1
	s_or_b32 s18, s18, 1
	v_cmp_lt_u64_e64 s20, s[18:19], s[22:23]
	s_and_b32 s20, s20, exec_lo
	s_cselect_b32 s20, 0, s22
	s_cselect_b32 s16, s16, s21
	s_cselect_b32 s21, 0, 0
	s_sub_u32 s18, s18, s20
	s_subb_u32 s19, s19, s21
	s_or_b32 s21, s16, 16
	s_lshl_b64 s[18:19], s[18:19], 1
	s_or_b32 s18, s18, 1
	v_cmp_lt_u64_e64 s20, s[18:19], s[22:23]
	s_and_b32 s20, s20, exec_lo
	s_cselect_b32 s20, 0, s22
	s_cselect_b32 s16, s16, s21
	s_cselect_b32 s21, 0, 0
	s_sub_u32 s18, s18, s20
	s_subb_u32 s19, s19, s21
	s_or_b32 s21, s16, 8
	s_lshl_b64 s[18:19], s[18:19], 1
	s_or_b32 s18, s18, 1
	v_cmp_lt_u64_e64 s20, s[18:19], s[22:23]
	s_and_b32 s20, s20, exec_lo
	s_cselect_b32 s20, 0, s22
	s_cselect_b32 s16, s16, s21
	s_cselect_b32 s21, 0, 0
	s_sub_u32 s18, s18, s20
	s_subb_u32 s19, s19, s21
	s_or_b32 s21, s16, 4
	s_lshl_b64 s[18:19], s[18:19], 1
	s_or_b32 s18, s18, 1
	v_cmp_lt_u64_e64 s20, s[18:19], s[22:23]
	s_and_b32 s20, s20, exec_lo
	s_cselect_b32 s20, 0, s22
	s_cselect_b32 s16, s16, s21
	s_cselect_b32 s21, 0, 0
	s_sub_u32 s18, s18, s20
	s_subb_u32 s19, s19, s21
	s_or_b32 s21, s16, 2
	s_lshl_b64 s[18:19], s[18:19], 1
	s_or_b32 s18, s18, 1
	v_cmp_lt_u64_e64 s20, s[18:19], s[22:23]
	s_and_b32 s20, s20, exec_lo
	s_cselect_b32 s20, 0, s22
	s_cselect_b32 s16, s16, s21
	;; [unrolled: 1-line block ×3, first 2 shown]
	s_sub_u32 s18, s18, s20
	s_subb_u32 s19, s19, s21
	s_lshl_b64 s[18:19], s[18:19], 1
	s_or_b32 s18, s18, 1
	v_cmp_ge_u64_e64 s18, s[18:19], s[22:23]
	v_cndmask_b32_e64 v2, 0, 1, s18
	v_or_b32_e32 v70, s16, v2
.LBB4_594:                              ;   in Loop: Header=BB4_497 Depth=2
	v_lshlrev_b32_e32 v2, 5, v47
	v_sub_nc_u32_e32 v9, v53, v56
	s_mov_b32 s19, exec_lo
	v_sub_nc_u32_e32 v2, v96, v2
	v_ashrrev_i32_e32 v10, 31, v9
	v_ashrrev_i32_e32 v8, 31, v2
	v_lshrrev_b32_e32 v10, 23, v10
	v_lshrrev_b32_e32 v8, 27, v8
	v_add_nc_u32_e32 v10, v9, v10
	v_add_nc_u32_e32 v8, v2, v8
	v_and_b32_e32 v47, 0xfffffe00, v10
	v_ashrrev_i32_e32 v10, 9, v10
	v_and_b32_e32 v11, 0xffffffe0, v8
	v_sub_nc_u32_e32 v58, v9, v47
	v_ashrrev_i32_e32 v8, 5, v8
	v_sub_nc_u32_e32 v57, v2, v11
	v_cmp_lt_i32_e64 s16, 15, v58
	v_lshlrev_b32_e32 v2, 4, v57
	v_add_co_ci_u32_e64 v10, null, 0, v10, s16
	v_lshl_add_u32 v2, v8, 9, v2
	v_sub_nc_u32_e32 v59, v10, v8
	v_sub_nc_u32_e32 v44, v9, v2
	v_cmpx_lt_i32_e32 15, v44
	s_cbranch_execz .LBB4_600
; %bb.595:                              ;   in Loop: Header=BB4_497 Depth=2
	s_trap 2
	ds_read_b64 v[8:9], v0
	v_add_nc_u32_e32 v2, v2, v56
	s_cmp_lt_i32 s76, 0
	s_mov_b32 s24, 0
	s_cselect_b32 s79, -1, 0
	v_ashrrev_i32_e32 v10, 31, v2
	v_add_co_u32 v80, vcc_lo, v2, v64
	v_add_co_ci_u32_e64 v81, null, v10, v65, vcc_lo
	v_add_co_u32 v45, vcc_lo, v2, v66
	v_add_co_ci_u32_e64 v46, null, v10, v67, vcc_lo
	s_waitcnt lgkmcnt(0)
	v_add_co_u32 v82, vcc_lo, v8, v2
	v_add_co_ci_u32_e64 v83, null, v9, v10, vcc_lo
	v_add_co_u32 v60, vcc_lo, v2, v68
	v_add_co_ci_u32_e64 v61, null, v10, v69, vcc_lo
.LBB4_596:                              ;   Parent Loop BB4_47 Depth=1
                                        ;     Parent Loop BB4_497 Depth=2
                                        ; =>    This Loop Header: Depth=3
                                        ;         Child Loop BB4_597 Depth 4
	global_load_dwordx4 v[8:11], v[80:81], off slc
	global_load_dwordx4 v[72:75], v[82:83], off slc
	s_mov_b64 s[20:21], 0
	s_mov_b32 s88, -1
	s_waitcnt vmcnt(0)
	v_add_co_u32 v8, vcc_lo, v72, v8
	v_add_co_ci_u32_e64 v9, null, v73, v9, vcc_lo
	v_mov_b32_e32 v73, v3
	v_sub_co_u32 v2, s17, 0, v8
	v_cmp_gt_i64_e32 vcc_lo, 0, v[8:9]
	v_sub_co_ci_u32_e64 v62, null, 0, v9, s17
	s_and_b32 vcc_lo, s79, vcc_lo
	v_cndmask_b32_e32 v77, v8, v2, vcc_lo
	v_add_co_u32 v8, s17, v74, v10
	v_cndmask_b32_e32 v76, v9, v62, vcc_lo
	v_add_co_ci_u32_e64 v9, null, v75, v11, s17
	v_mul_hi_u32 v2, v77, v70
	v_sub_co_u32 v62, s18, 0, v8
	v_cmp_gt_i64_e64 s17, 0, v[8:9]
	v_mad_u64_u32 v[10:11], null, v76, v70, v[2:3]
	v_sub_co_ci_u32_e64 v2, null, 0, v9, s18
	s_and_b32 s17, s79, s17
	v_cndmask_b32_e64 v75, v8, v62, s17
	v_cndmask_b32_e64 v74, v9, v2, s17
	v_mov_b32_e32 v2, v10
	v_mov_b32_e32 v72, v11
	;; [unrolled: 1-line block ×3, first 2 shown]
	v_mad_u64_u32 v[8:9], null, v77, v71, v[2:3]
	v_mul_hi_u32 v2, v75, v70
	v_mad_u64_u32 v[62:63], null, v74, v70, v[2:3]
	v_mov_b32_e32 v2, v62
	v_mov_b32_e32 v10, v63
	v_mad_u64_u32 v[62:63], null, v76, v71, v[72:73]
	v_mad_u64_u32 v[72:73], null, v75, v71, v[2:3]
	;; [unrolled: 1-line block ×3, first 2 shown]
	v_add_co_u32 v78, s18, v62, v9
	v_add_co_ci_u32_e64 v79, null, 0, v63, s18
	v_add_co_u32 v88, s18, v10, v73
	v_mad_u64_u32 v[8:9], null, v78, s22, 0
	v_add_co_ci_u32_e64 v89, null, 0, v11, s18
	v_mad_u64_u32 v[10:11], null, v88, s22, 0
	v_mov_b32_e32 v2, v9
	v_sub_co_u32 v8, s18, v77, v8
	v_mov_b32_e32 v9, v11
	v_mad_u64_u32 v[62:63], null, v79, s22, v[2:3]
	v_mad_u64_u32 v[72:73], null, v89, s22, v[9:10]
	v_sub_co_ci_u32_e64 v9, null, v76, v62, s18
	v_sub_co_u32 v10, s18, v75, v10
	v_sub_co_ci_u32_e64 v11, null, v74, v72, s18
	v_cmp_le_u64_e64 s18, s[22:23], v[8:9]
	v_cndmask_b32_e64 v2, 0, 1, s18
	v_cmp_le_u64_e64 s18, s[22:23], v[10:11]
	v_cndmask_b32_e64 v8, 0, 1, s18
	v_add_co_u32 v2, s18, v78, v2
	v_add_co_ci_u32_e64 v9, null, 0, v79, s18
	v_add_co_u32 v10, s18, v88, v8
	v_add_co_ci_u32_e64 v11, null, 0, v89, s18
	v_sub_co_u32 v8, s18, 0, v2
	v_sub_co_ci_u32_e64 v62, null, 0, v9, s18
	v_sub_co_u32 v63, s18, 0, v10
	v_sub_co_ci_u32_e64 v72, null, 0, v11, s18
	v_cndmask_b32_e32 v9, v9, v62, vcc_lo
	v_cndmask_b32_e32 v8, v2, v8, vcc_lo
	v_cndmask_b32_e64 v10, v10, v63, s17
	v_cndmask_b32_e64 v11, v11, v72, s17
	.p2align	6
.LBB4_597:                              ;   Parent Loop BB4_47 Depth=1
                                        ;     Parent Loop BB4_497 Depth=2
                                        ;       Parent Loop BB4_596 Depth=3
                                        ; =>      This Inner Loop Header: Depth=4
	s_cmp_eq_u32 s20, 1
	s_cselect_b32 vcc_lo, -1, 0
	s_cmp_eq_u32 s20, 0
	v_cndmask_b32_e32 v62, v45, v60, vcc_lo
	v_cndmask_b32_e32 v63, v46, v61, vcc_lo
	s_mov_b64 s[20:21], 1
	v_add_co_u32 v2, s17, 0x200, v62
	v_add_co_ci_u32_e64 v72, null, 0, v63, s17
	s_cselect_b32 s17, -1, 0
	v_cndmask_b32_e32 v60, v60, v2, vcc_lo
	v_cndmask_b32_e64 v45, v45, v2, s17
	v_cndmask_b32_e32 v61, v61, v72, vcc_lo
	v_cndmask_b32_e64 v46, v46, v72, s17
	s_and_b32 s18, exec_lo, s88
	s_mov_b32 s88, 0
	s_mov_b32 vcc_lo, s18
	global_store_dwordx4 v[62:63], v[8:11], off glc slc
	s_cbranch_vccnz .LBB4_597
; %bb.598:                              ;   in Loop: Header=BB4_596 Depth=3
	v_add_co_u32 v80, vcc_lo, v80, v119
	v_sub_nc_u32_e32 v44, v44, v102
	v_add_co_ci_u32_e64 v81, null, v81, v40, vcc_lo
	v_add_co_u32 v82, vcc_lo, v82, v119
	v_add_co_ci_u32_e64 v83, null, v83, v40, vcc_lo
	v_add_co_u32 v45, vcc_lo, v45, v114
	v_add_co_ci_u32_e64 v46, null, v46, v117, vcc_lo
	v_cmp_gt_i32_e32 vcc_lo, 16, v44
	v_add_co_u32 v60, s17, v60, v114
	v_add_co_ci_u32_e64 v61, null, v61, v117, s17
	v_sub_nc_u32_e32 v59, v59, v87
	s_or_b32 s24, vcc_lo, s24
	s_andn2_b32 exec_lo, exec_lo, s24
	s_cbranch_execnz .LBB4_596
; %bb.599:                              ;   in Loop: Header=BB4_497 Depth=2
	s_or_b32 exec_lo, exec_lo, s24
.LBB4_600:                              ;   in Loop: Header=BB4_497 Depth=2
	s_or_b32 exec_lo, exec_lo, s19
	v_and_b32_e32 v8, 8, v53
	s_mov_b32 s18, s77
	s_mov_b32 s17, exec_lo
                                        ; implicit-def: $vgpr44
                                        ; implicit-def: $vgpr2
                                        ; implicit-def: $vgpr46
	v_cndmask_b32_e64 v45, v58, v8, s16
	v_cmpx_ne_u32_e32 0, v45
	s_cbranch_execz .LBB4_602
; %bb.601:                              ;   in Loop: Header=BB4_497 Depth=2
	v_cmp_lt_i32_e32 vcc_lo, 0, v59
	v_sub_nc_u32_e32 v8, v58, v8
	s_or_b32 s18, s77, exec_lo
	v_cndmask_b32_e32 v2, 0, v87, vcc_lo
	v_cndmask_b32_e64 v8, 0, v8, s16
	v_sub_nc_u32_e32 v2, v2, v59
	v_add3_u32 v44, v47, v56, v8
	v_lshl_add_u32 v2, v2, 5, v57
	v_ashrrev_i32_e32 v9, 31, v2
	v_lshrrev_b32_e32 v9, 27, v9
	v_add_nc_u32_e32 v9, v2, v9
	v_and_b32_e32 v9, 0xffffffe0, v9
	v_sub_nc_u32_e32 v46, v2, v9
.LBB4_602:                              ;   in Loop: Header=BB4_497 Depth=2
	s_or_b32 exec_lo, exec_lo, s17
	s_andn2_b32 s16, s77, exec_lo
	s_and_b32 s17, s18, exec_lo
	s_or_b32 s77, s16, s17
.LBB4_603:                              ;   in Loop: Header=BB4_497 Depth=2
	s_or_b32 exec_lo, exec_lo, s78
	s_mov_b64 s[20:21], s[22:23]
	s_and_saveexec_b32 s78, s77
	s_cbranch_execz .LBB4_624
.LBB4_604:                              ;   in Loop: Header=BB4_497 Depth=2
	v_mov_b32_e32 v8, -1
	v_mov_b32_e32 v9, -1
	s_cmp_lt_i32 s22, 1
	s_cbranch_scc1 .LBB4_609
; %bb.605:                              ;   in Loop: Header=BB4_497 Depth=2
	s_cmp_lg_u32 s22, 1
	s_cbranch_scc1 .LBB4_607
; %bb.606:                              ;   in Loop: Header=BB4_497 Depth=2
	s_mov_b32 s24, s23
	s_mov_b64 s[18:19], 1
	s_mov_b64 s[16:17], s[24:25]
	s_branch .LBB4_608
.LBB4_607:                              ;   in Loop: Header=BB4_497 Depth=2
	s_mov_b64 s[18:19], 3
	s_mov_b64 s[16:17], 0
.LBB4_608:                              ;   in Loop: Header=BB4_497 Depth=2
	v_cmp_lt_u64_e64 s19, s[18:19], s[20:21]
	s_or_b32 s24, s17, 2.0
	s_and_b32 s19, s19, exec_lo
	s_cselect_b32 s19, 0, s20
	s_cselect_b32 s17, s17, s24
	s_sub_i32 s18, s18, s19
	s_mov_b32 s19, s23
	s_lshl_b32 s18, s18, 1
	s_or_b32 s24, s17, 0x20000000
	s_or_b32 s18, s18, 1
	v_cmp_lt_u64_e64 s19, s[18:19], s[20:21]
	s_and_b32 s19, s19, exec_lo
	s_cselect_b32 s19, 0, s20
	s_cselect_b32 s17, s17, s24
	s_cselect_b32 s24, 0, s21
	s_sub_u32 s18, s18, s19
	s_subb_u32 s19, 0, s24
	s_or_b32 s77, s17, 0x10000000
	s_lshl_b64 s[18:19], s[18:19], 1
	s_or_b32 s18, s18, 1
	v_cmp_lt_u64_e64 s24, s[18:19], s[20:21]
	s_and_b32 s24, s24, exec_lo
	s_cselect_b32 s24, 0, s20
	s_cselect_b32 s17, s17, s77
	s_cselect_b32 s77, 0, s21
	s_sub_u32 s18, s18, s24
	s_subb_u32 s19, s19, s77
	s_or_b32 s77, s17, 0x8000000
	s_lshl_b64 s[18:19], s[18:19], 1
	;; [unrolled: 10-line block ×30, first 2 shown]
	v_mov_b32_e32 v9, s17
	s_or_b32 s18, s18, 1
	v_cmp_lt_u64_e64 s24, s[18:19], s[20:21]
	s_and_b32 s24, s24, exec_lo
	s_cselect_b32 s24, 0, s20
	s_cselect_b32 s16, s16, s77
	;; [unrolled: 1-line block ×3, first 2 shown]
	s_sub_u32 s18, s18, s24
	s_subb_u32 s19, s19, s77
	s_or_b32 s77, s16, 2.0
	s_lshl_b64 s[18:19], s[18:19], 1
	s_or_b32 s18, s18, 1
	v_cmp_lt_u64_e64 s24, s[18:19], s[20:21]
	s_and_b32 s24, s24, exec_lo
	s_cselect_b32 s24, 0, s20
	s_cselect_b32 s16, s16, s77
	s_cselect_b32 s77, 0, s21
	s_sub_u32 s18, s18, s24
	s_subb_u32 s19, s19, s77
	s_or_b32 s77, s16, 0x20000000
	s_lshl_b64 s[18:19], s[18:19], 1
	s_or_b32 s18, s18, 1
	v_cmp_lt_u64_e64 s24, s[18:19], s[20:21]
	s_and_b32 s24, s24, exec_lo
	s_cselect_b32 s24, 0, s20
	s_cselect_b32 s16, s16, s77
	s_cselect_b32 s77, 0, s21
	s_sub_u32 s18, s18, s24
	s_subb_u32 s19, s19, s77
	s_or_b32 s77, s16, 0x10000000
	;; [unrolled: 10-line block ×29, first 2 shown]
	s_lshl_b64 s[18:19], s[18:19], 1
	s_or_b32 s18, s18, 1
	v_cmp_lt_u64_e64 s24, s[18:19], s[20:21]
	s_and_b32 s24, s24, exec_lo
	s_cselect_b32 s24, 0, s20
	s_cselect_b32 s16, s16, s77
	;; [unrolled: 1-line block ×3, first 2 shown]
	s_sub_u32 s18, s18, s24
	s_subb_u32 s19, s19, s77
	s_lshl_b64 s[18:19], s[18:19], 1
	s_or_b32 s18, s18, 1
	v_cmp_ge_u64_e64 s18, s[18:19], s[20:21]
	v_cndmask_b32_e64 v8, 0, 1, s18
	v_or_b32_e32 v8, s16, v8
.LBB4_609:                              ;   in Loop: Header=BB4_497 Depth=2
	v_ashrrev_i32_e32 v10, 31, v2
	v_ashrrev_i32_e32 v11, 31, v45
	s_mov_b32 s19, exec_lo
	v_lshrrev_b32_e32 v10, 27, v10
	v_lshrrev_b32_e32 v11, 23, v11
	v_add_nc_u32_e32 v2, v2, v10
	v_add_nc_u32_e32 v10, v45, v11
	v_ashrrev_i32_e32 v2, 5, v2
	v_ashrrev_i32_e32 v56, 9, v10
	v_sub_nc_u32_e32 v47, v56, v2
	v_cmpx_lt_i32_e32 0, v47
	s_cbranch_execz .LBB4_613
; %bb.610:                              ;   in Loop: Header=BB4_497 Depth=2
	s_trap 2
	ds_read_b64 v[80:81], v0
	v_lshlrev_b32_e32 v2, 9, v2
	v_lshlrev_b32_e32 v10, 3, v46
	s_cmp_lt_i32 s76, 0
	s_mov_b32 s24, 0
	s_cselect_b32 s77, -1, 0
	v_add3_u32 v2, v44, v10, v2
	v_ashrrev_i32_e32 v83, 31, v2
	v_add_co_u32 v10, vcc_lo, v2, v64
	v_add_co_ci_u32_e64 v11, null, v83, v65, vcc_lo
	v_add_co_u32 v70, vcc_lo, v2, v66
	v_add_co_ci_u32_e64 v71, null, v83, v67, vcc_lo
	s_waitcnt lgkmcnt(0)
	v_add_co_u32 v80, vcc_lo, v80, v2
	v_add_co_ci_u32_e64 v81, null, v81, v83, vcc_lo
	v_add_co_u32 v82, vcc_lo, v2, v68
	v_add_co_ci_u32_e64 v83, null, v83, v69, vcc_lo
.LBB4_611:                              ;   Parent Loop BB4_47 Depth=1
                                        ;     Parent Loop BB4_497 Depth=2
                                        ; =>    This Inner Loop Header: Depth=3
	flat_load_dwordx2 v[57:58], v[80:81] slc
	s_clause 0x1
	flat_load_dwordx2 v[59:60], v[10:11] slc
	flat_load_dwordx2 v[61:62], v[10:11] offset:256 slc
	flat_load_dwordx2 v[72:73], v[80:81] offset:256 slc
	v_mov_b32_e32 v63, v3
	v_mov_b32_e32 v74, v3
	v_sub_nc_u32_e32 v47, v47, v87
	v_add_co_u32 v10, vcc_lo, v10, v102
	v_add_co_ci_u32_e64 v11, null, 0, v11, vcc_lo
	v_add_co_u32 v80, vcc_lo, v80, v102
	v_add_co_ci_u32_e64 v81, null, 0, v81, vcc_lo
	v_cmp_gt_i32_e32 vcc_lo, 1, v47
	s_waitcnt vmcnt(2) lgkmcnt(2)
	v_add_co_u32 v57, s16, v57, v59
	v_add_co_ci_u32_e64 v58, null, v58, v60, s16
	s_waitcnt vmcnt(0) lgkmcnt(0)
	v_add_co_u32 v59, s16, v72, v61
	v_add_co_ci_u32_e64 v60, null, v73, v62, s16
	v_cmp_gt_i64_e64 s16, 0, v[57:58]
	v_sub_co_u32 v2, s17, 0, v57
	v_sub_co_ci_u32_e64 v61, null, 0, v58, s17
	v_cmp_gt_i64_e64 s17, 0, v[59:60]
	s_and_b32 s16, s77, s16
	v_sub_co_u32 v62, s18, 0, v59
	v_cndmask_b32_e64 v76, v57, v2, s16
	v_cndmask_b32_e64 v75, v58, v61, s16
	s_and_b32 s17, s77, s17
	v_sub_co_ci_u32_e64 v72, null, 0, v60, s18
	v_mul_hi_u32 v2, v76, v8
	v_cndmask_b32_e64 v77, v59, v62, s17
	s_or_b32 s24, vcc_lo, s24
	v_cndmask_b32_e64 v72, v60, v72, s17
	v_mad_u64_u32 v[57:58], null, v75, v8, v[2:3]
	v_mov_b32_e32 v2, v57
	v_mov_b32_e32 v62, v58
	v_mad_u64_u32 v[57:58], null, v76, v9, v[2:3]
	v_mad_u64_u32 v[59:60], null, v75, v9, v[62:63]
	v_mul_hi_u32 v2, v77, v8
	v_add_co_u32 v63, s18, v59, v58
	v_add_co_ci_u32_e64 v78, null, 0, v60, s18
	v_mad_u64_u32 v[57:58], null, v72, v8, v[2:3]
	v_mul_lo_u32 v88, v63, s21
	v_mul_lo_u32 v79, v78, s20
	v_mad_u64_u32 v[59:60], null, v63, s20, 0
	v_mov_b32_e32 v2, v57
	v_mov_b32_e32 v73, v58
	v_sub_co_u32 v59, s18, v76, v59
	v_mad_u64_u32 v[57:58], null, v77, v9, v[2:3]
	v_mad_u64_u32 v[61:62], null, v72, v9, v[73:74]
	v_add3_u32 v2, v60, v88, v79
	v_sub_co_ci_u32_e64 v60, null, v75, v2, s18
	v_add_co_u32 v2, s18, v61, v58
	v_add_co_ci_u32_e64 v61, null, 0, v62, s18
	v_cmp_le_u64_e64 s18, s[20:21], v[59:60]
	v_mul_lo_u32 v62, v2, s21
	v_mad_u64_u32 v[57:58], null, v2, s20, 0
	v_mul_lo_u32 v60, v61, s20
	v_cndmask_b32_e64 v59, 0, 1, s18
	v_add_co_u32 v59, s18, v63, v59
	v_add_co_ci_u32_e64 v63, null, 0, v78, s18
	v_add3_u32 v58, v58, v62, v60
	v_sub_co_u32 v73, s18, 0, v59
	v_sub_co_ci_u32_e64 v74, null, 0, v63, s18
	v_sub_co_u32 v57, s18, v77, v57
	v_sub_co_ci_u32_e64 v58, null, v72, v58, s18
	v_cndmask_b32_e64 v60, v63, v74, s16
	v_cndmask_b32_e64 v59, v59, v73, s16
	v_cmp_le_u64_e64 s16, s[20:21], v[57:58]
	flat_store_dwordx2 v[70:71], v[59:60] glc slc
	v_cndmask_b32_e64 v57, 0, 1, s16
	v_add_co_u32 v2, s16, v2, v57
	v_add_co_ci_u32_e64 v57, null, 0, v61, s16
	v_sub_co_u32 v61, s16, 0, v2
	v_sub_co_ci_u32_e64 v58, null, 0, v57, s16
	v_cndmask_b32_e64 v58, v57, v58, s17
	v_cndmask_b32_e64 v57, v2, v61, s17
	flat_store_dwordx2 v[70:71], v[57:58] offset:256 glc slc
	flat_store_dwordx2 v[82:83], v[59:60] glc slc
	flat_store_dwordx2 v[82:83], v[57:58] offset:256 glc slc
	v_add_co_u32 v70, s16, v70, v102
	v_add_co_ci_u32_e64 v71, null, 0, v71, s16
	v_add_co_u32 v82, s16, v82, v102
	v_add_co_ci_u32_e64 v83, null, 0, v83, s16
	s_andn2_b32 exec_lo, exec_lo, s24
	s_cbranch_execnz .LBB4_611
; %bb.612:                              ;   in Loop: Header=BB4_497 Depth=2
	s_or_b32 exec_lo, exec_lo, s24
.LBB4_613:                              ;   in Loop: Header=BB4_497 Depth=2
	s_or_b32 exec_lo, exec_lo, s19
	v_lshlrev_b32_e32 v2, 9, v56
	v_cmp_ne_u32_e32 vcc_lo, v45, v2
	s_and_b32 exec_lo, exec_lo, vcc_lo
	s_cbranch_execz .LBB4_624
; %bb.614:                              ;   in Loop: Header=BB4_497 Depth=2
	v_mov_b32_e32 v8, -1
	v_mov_b32_e32 v9, -1
	s_cmp_lt_i32 s22, 1
	s_cbranch_scc1 .LBB4_619
; %bb.615:                              ;   in Loop: Header=BB4_497 Depth=2
	s_cmp_lg_u32 s22, 1
	s_cbranch_scc1 .LBB4_617
; %bb.616:                              ;   in Loop: Header=BB4_497 Depth=2
	s_mov_b32 s24, s23
	s_mov_b64 s[18:19], 1
	s_mov_b64 s[16:17], s[24:25]
	s_branch .LBB4_618
.LBB4_617:                              ;   in Loop: Header=BB4_497 Depth=2
	s_mov_b64 s[18:19], 3
	s_mov_b64 s[16:17], 0
.LBB4_618:                              ;   in Loop: Header=BB4_497 Depth=2
	v_cmp_lt_u64_e64 s19, s[18:19], s[20:21]
	s_or_b32 s22, s17, 2.0
	s_and_b32 s19, s19, exec_lo
	s_cselect_b32 s19, 0, s20
	s_cselect_b32 s17, s17, s22
	s_sub_i32 s18, s18, s19
	s_or_b32 s19, s17, 0x20000000
	s_lshl_b32 s18, s18, 1
	s_or_b32 s22, s18, 1
	v_cmp_lt_u64_e64 s18, s[22:23], s[20:21]
	s_and_b32 s18, s18, exec_lo
	s_cselect_b32 s18, 0, s20
	s_cselect_b32 s17, s17, s19
	s_cselect_b32 s19, 0, s21
	s_sub_u32 s18, s22, s18
	s_subb_u32 s19, 0, s19
	s_or_b32 s24, s17, 0x10000000
	s_lshl_b64 s[18:19], s[18:19], 1
	s_or_b32 s18, s18, 1
	v_cmp_lt_u64_e64 s22, s[18:19], s[20:21]
	s_and_b32 s22, s22, exec_lo
	s_cselect_b32 s22, 0, s20
	s_cselect_b32 s17, s17, s24
	s_cselect_b32 s24, 0, s21
	s_sub_u32 s18, s18, s22
	s_subb_u32 s19, s19, s24
	s_or_b32 s24, s17, 0x8000000
	s_lshl_b64 s[18:19], s[18:19], 1
	;; [unrolled: 10-line block ×30, first 2 shown]
	v_mov_b32_e32 v9, s17
	s_or_b32 s18, s18, 1
	v_cmp_lt_u64_e64 s22, s[18:19], s[20:21]
	s_and_b32 s22, s22, exec_lo
	s_cselect_b32 s22, 0, s20
	s_cselect_b32 s16, s16, s24
	s_cselect_b32 s24, 0, s21
	s_sub_u32 s18, s18, s22
	s_subb_u32 s19, s19, s24
	s_or_b32 s24, s16, 2.0
	s_lshl_b64 s[18:19], s[18:19], 1
	s_or_b32 s18, s18, 1
	v_cmp_lt_u64_e64 s22, s[18:19], s[20:21]
	s_and_b32 s22, s22, exec_lo
	s_cselect_b32 s22, 0, s20
	s_cselect_b32 s16, s16, s24
	s_cselect_b32 s24, 0, s21
	s_sub_u32 s18, s18, s22
	s_subb_u32 s19, s19, s24
	s_or_b32 s24, s16, 0x20000000
	s_lshl_b64 s[18:19], s[18:19], 1
	s_or_b32 s18, s18, 1
	v_cmp_lt_u64_e64 s22, s[18:19], s[20:21]
	s_and_b32 s22, s22, exec_lo
	s_cselect_b32 s22, 0, s20
	s_cselect_b32 s16, s16, s24
	s_cselect_b32 s24, 0, s21
	s_sub_u32 s18, s18, s22
	s_subb_u32 s19, s19, s24
	s_or_b32 s24, s16, 0x10000000
	;; [unrolled: 10-line block ×29, first 2 shown]
	s_lshl_b64 s[18:19], s[18:19], 1
	s_or_b32 s18, s18, 1
	v_cmp_lt_u64_e64 s22, s[18:19], s[20:21]
	s_and_b32 s22, s22, exec_lo
	s_cselect_b32 s22, 0, s20
	s_cselect_b32 s16, s16, s24
	;; [unrolled: 1-line block ×3, first 2 shown]
	s_sub_u32 s18, s18, s22
	s_subb_u32 s19, s19, s24
	s_lshl_b64 s[18:19], s[18:19], 1
	s_or_b32 s18, s18, 1
	v_cmp_ge_u64_e64 s18, s[18:19], s[20:21]
	v_cndmask_b32_e64 v8, 0, 1, s18
	v_or_b32_e32 v8, s16, v8
.LBB4_619:                              ;   in Loop: Header=BB4_497 Depth=2
	v_lshlrev_b32_e32 v10, 5, v47
	v_sub_nc_u32_e32 v10, v46, v10
	v_ashrrev_i32_e32 v11, 31, v10
	v_lshrrev_b32_e32 v11, 27, v11
	v_add_nc_u32_e32 v11, v10, v11
	v_and_b32_e32 v70, 0x1fffffe0, v11
	v_lshlrev_b32_e32 v11, 3, v11
	v_sub_nc_u32_e32 v10, v10, v70
	v_and_b32_e32 v11, 0xffffff00, v11
	v_lshl_add_u32 v10, v10, 3, v11
	v_add_nc_u32_e32 v11, v2, v10
	v_sub_nc_u32_e32 v82, v45, v11
	v_cmp_lt_i32_e32 vcc_lo, 7, v82
	s_and_b32 exec_lo, exec_lo, vcc_lo
	s_cbranch_execz .LBB4_624
; %bb.620:                              ;   in Loop: Header=BB4_497 Depth=2
	s_trap 2
	ds_read_b64 v[70:71], v0
	v_add3_u32 v2, v2, v44, v10
	s_cmp_lt_i32 s76, 0
	s_mov_b32 s22, 0
	s_cselect_b32 s24, -1, 0
	v_ashrrev_i32_e32 v80, 31, v2
	v_add_co_u32 v10, vcc_lo, v2, v64
	v_add_co_ci_u32_e64 v11, null, v80, v65, vcc_lo
	v_add_co_u32 v83, vcc_lo, v2, v66
	v_add_co_ci_u32_e64 v44, null, v80, v67, vcc_lo
	s_waitcnt lgkmcnt(0)
	v_add_co_u32 v70, vcc_lo, v70, v2
	v_add_co_ci_u32_e64 v71, null, v71, v80, vcc_lo
	v_add_co_u32 v45, vcc_lo, v2, v68
	v_add_co_ci_u32_e64 v69, null, v80, v69, vcc_lo
.LBB4_621:                              ;   Parent Loop BB4_47 Depth=1
                                        ;     Parent Loop BB4_497 Depth=2
                                        ; =>    This Loop Header: Depth=3
                                        ;         Child Loop BB4_622 Depth 4
	flat_load_dwordx2 v[80:81], v[10:11] slc
	flat_load_dwordx2 v[46:47], v[70:71] slc
	s_mov_b64 s[18:19], 0
	s_mov_b32 s76, -1
	s_waitcnt vmcnt(0) lgkmcnt(0)
	v_add_co_u32 v80, vcc_lo, v46, v80
	v_add_co_ci_u32_e64 v81, null, v47, v81, vcc_lo
	v_mov_b32_e32 v47, v3
	v_sub_co_u32 v2, s16, 0, v80
	v_cmp_gt_i64_e32 vcc_lo, 0, v[80:81]
	v_sub_co_ci_u32_e64 v46, null, 0, v81, s16
	s_and_b32 vcc_lo, s24, vcc_lo
	v_cndmask_b32_e32 v57, v80, v2, vcc_lo
	v_cndmask_b32_e32 v56, v81, v46, vcc_lo
	v_mul_hi_u32 v2, v57, v8
	v_mad_u64_u32 v[80:81], null, v56, v8, v[2:3]
	v_mov_b32_e32 v2, v80
	v_mov_b32_e32 v46, v81
	v_mad_u64_u32 v[80:81], null, v57, v9, v[2:3]
	v_mad_u64_u32 v[46:47], null, v56, v9, v[46:47]
	v_add_co_u32 v2, s16, v46, v81
	v_add_co_ci_u32_e64 v46, null, 0, v47, s16
	v_mul_lo_u32 v58, v2, s21
	v_mad_u64_u32 v[80:81], null, v2, s20, 0
	v_mul_lo_u32 v47, v46, s20
	v_sub_co_u32 v80, s16, v57, v80
	v_add3_u32 v81, v81, v58, v47
	v_sub_co_ci_u32_e64 v81, null, v56, v81, s16
	v_cmp_le_u64_e64 s16, s[20:21], v[80:81]
	v_cndmask_b32_e64 v80, 0, 1, s16
	v_add_co_u32 v2, s16, v2, v80
	v_add_co_ci_u32_e64 v80, null, 0, v46, s16
	v_sub_co_u32 v46, s16, 0, v2
	v_sub_co_ci_u32_e64 v81, null, 0, v80, s16
	v_cndmask_b32_e32 v81, v80, v81, vcc_lo
	v_cndmask_b32_e32 v80, v2, v46, vcc_lo
	.p2align	6
.LBB4_622:                              ;   Parent Loop BB4_47 Depth=1
                                        ;     Parent Loop BB4_497 Depth=2
                                        ;       Parent Loop BB4_621 Depth=3
                                        ; =>      This Inner Loop Header: Depth=4
	s_cmp_eq_u32 s18, 1
	s_cselect_b32 vcc_lo, -1, 0
	s_cmp_eq_u32 s18, 0
	v_cndmask_b32_e32 v46, v83, v45, vcc_lo
	v_cndmask_b32_e32 v47, v44, v69, vcc_lo
	s_mov_b64 s[18:19], 1
	v_add_co_u32 v2, s16, 0x100, v46
	v_add_co_ci_u32_e64 v56, null, 0, v47, s16
	s_cselect_b32 s16, -1, 0
	v_cndmask_b32_e32 v45, v45, v2, vcc_lo
	v_cndmask_b32_e64 v83, v83, v2, s16
	v_cndmask_b32_e32 v69, v69, v56, vcc_lo
	v_cndmask_b32_e64 v44, v44, v56, s16
	s_and_b32 s17, exec_lo, s76
	s_mov_b32 s76, 0
	s_mov_b32 vcc_lo, s17
	flat_store_dwordx2 v[46:47], v[80:81] glc slc
	s_cbranch_vccnz .LBB4_622
; %bb.623:                              ;   in Loop: Header=BB4_621 Depth=3
	v_add_co_u32 v10, vcc_lo, v10, v41
	v_sub_nc_u32_e32 v82, v82, v103
	v_add_co_ci_u32_e64 v11, null, v11, v42, vcc_lo
	v_add_co_u32 v70, vcc_lo, v70, v41
	v_add_co_ci_u32_e64 v71, null, v71, v42, vcc_lo
	v_add_co_u32 v83, vcc_lo, v83, v115
	v_add_co_ci_u32_e64 v44, null, v44, v118, vcc_lo
	v_cmp_gt_i32_e32 vcc_lo, 8, v82
	v_add_co_u32 v45, s16, v45, v115
	v_add_co_ci_u32_e64 v69, null, v69, v118, s16
	s_or_b32 s22, vcc_lo, s22
	s_andn2_b32 exec_lo, exec_lo, s22
	s_cbranch_execnz .LBB4_621
.LBB4_624:                              ;   in Loop: Header=BB4_497 Depth=2
	s_or_b32 exec_lo, exec_lo, s78
	s_mov_b32 s16, 0
.LBB4_625:                              ;   in Loop: Header=BB4_497 Depth=2
	s_and_b32 vcc_lo, exec_lo, s16
	s_cbranch_vccz .LBB4_635
; %bb.626:                              ;   in Loop: Header=BB4_497 Depth=2
	s_mov_b32 s16, -1
	s_and_saveexec_b32 s17, s14
	s_cbranch_execz .LBB4_628
; %bb.627:                              ;   in Loop: Header=BB4_497 Depth=2
	ds_read_b32 v2, v0 offset:720
	s_waitcnt lgkmcnt(0)
	v_and_b32_e32 v2, 15, v2
	v_cmp_eq_u32_e32 vcc_lo, 0, v2
	s_orn2_b32 s16, vcc_lo, exec_lo
.LBB4_628:                              ;   in Loop: Header=BB4_497 Depth=2
	s_or_b32 exec_lo, exec_lo, s17
	s_and_saveexec_b32 s17, s12
	s_cbranch_execz .LBB4_630
; %bb.629:                              ;   in Loop: Header=BB4_497 Depth=2
	ds_read_b32 v2, v0 offset:784
	s_waitcnt lgkmcnt(0)
	v_and_b32_e32 v2, 15, v2
	v_cmp_eq_u32_e32 vcc_lo, 0, v2
	s_and_b32 s18, s16, vcc_lo
	s_andn2_b32 s16, s16, exec_lo
	s_and_b32 s18, s18, exec_lo
	s_or_b32 s16, s16, s18
.LBB4_630:                              ;   in Loop: Header=BB4_497 Depth=2
	s_or_b32 exec_lo, exec_lo, s17
	s_xor_b32 s16, s16, -1
	v_cndmask_b32_e64 v2, 0, 1, s16
	s_mov_b32 s16, -1
	v_cmp_ne_u32_e32 vcc_lo, 0, v2
	v_alignbit_b32 v2, v68, v68, 1
	s_cbranch_vccz .LBB4_636
; %bb.631:                              ;   in Loop: Header=BB4_497 Depth=2
	v_readfirstlane_b32 s16, v2
	v_readfirstlane_b32 s76, v2
	s_mov_b32 s77, -1
	s_and_b32 s22, s16, 0x7fffffff
	s_mov_b64 s[20:21], s[22:23]
	v_mov_b32_e32 v80, 0
	s_cbranch_execnz .LBB4_637
.LBB4_632:                              ;   in Loop: Header=BB4_497 Depth=2
	v_readfirstlane_b32 s16, v2
	v_mov_b32_e32 v8, -1
	v_readfirstlane_b32 s76, v2
	v_mov_b32_e32 v9, -1
	s_and_b32 s22, s16, 0x7fffffff
	s_cmp_lt_i32 s22, 1
	s_cbranch_scc1 .LBB4_640
; %bb.633:                              ;   in Loop: Header=BB4_497 Depth=2
	s_cmp_lg_u32 s22, 1
	s_cbranch_scc1 .LBB4_638
; %bb.634:                              ;   in Loop: Header=BB4_497 Depth=2
	s_mov_b32 s24, s23
	s_mov_b64 s[18:19], 1
	s_mov_b64 s[16:17], s[24:25]
	s_branch .LBB4_639
.LBB4_635:                              ;   in Loop: Header=BB4_497 Depth=2
	v_cmp_lt_i32_e64 s16, 0, v51
	s_and_saveexec_b32 s17, s6
	s_cbranch_execnz .LBB4_677
	s_branch .LBB4_576
.LBB4_636:                              ;   in Loop: Header=BB4_497 Depth=2
	s_mov_b32 s77, 0
                                        ; implicit-def: $sgpr76
                                        ; implicit-def: $sgpr20_sgpr21
	v_mov_b32_e32 v80, 0
	s_andn2_b32 vcc_lo, exec_lo, s16
	s_cbranch_vccz .LBB4_632
.LBB4_637:                              ;   in Loop: Header=BB4_497 Depth=2
	v_mov_b32_e32 v2, v0
	v_mov_b32_e32 v81, v96
	s_and_saveexec_b32 s78, s77
	s_cbranch_execnz .LBB4_658
	s_branch .LBB4_676
.LBB4_638:                              ;   in Loop: Header=BB4_497 Depth=2
	s_mov_b64 s[18:19], 3
	s_mov_b64 s[16:17], 0
.LBB4_639:                              ;   in Loop: Header=BB4_497 Depth=2
	v_cmp_lt_u64_e64 s19, s[18:19], s[22:23]
	s_or_b32 s20, s17, 2.0
	s_and_b32 s19, s19, exec_lo
	s_cselect_b32 s19, 0, s22
	s_cselect_b32 s17, s17, s20
	s_sub_i32 s18, s18, s19
	s_mov_b32 s19, s23
	s_lshl_b32 s18, s18, 1
	s_or_b32 s20, s17, 0x20000000
	s_or_b32 s18, s18, 1
	v_cmp_lt_u64_e64 s19, s[18:19], s[22:23]
	s_and_b32 s19, s19, exec_lo
	s_cselect_b32 s19, 0, s22
	s_cselect_b32 s17, s17, s20
	s_cselect_b32 s20, 0, 0
	s_sub_u32 s18, s18, s19
	s_subb_u32 s19, 0, s20
	s_or_b32 s21, s17, 0x10000000
	s_lshl_b64 s[18:19], s[18:19], 1
	s_or_b32 s18, s18, 1
	v_cmp_lt_u64_e64 s20, s[18:19], s[22:23]
	s_and_b32 s20, s20, exec_lo
	s_cselect_b32 s20, 0, s22
	s_cselect_b32 s17, s17, s21
	s_cselect_b32 s21, 0, 0
	s_sub_u32 s18, s18, s20
	s_subb_u32 s19, s19, s21
	s_or_b32 s21, s17, 0x8000000
	s_lshl_b64 s[18:19], s[18:19], 1
	;; [unrolled: 10-line block ×30, first 2 shown]
	v_mov_b32_e32 v9, s17
	s_or_b32 s18, s18, 1
	v_cmp_lt_u64_e64 s20, s[18:19], s[22:23]
	s_and_b32 s20, s20, exec_lo
	s_cselect_b32 s20, 0, s22
	s_cselect_b32 s16, s16, s21
	s_cselect_b32 s21, 0, 0
	s_sub_u32 s18, s18, s20
	s_subb_u32 s19, s19, s21
	s_or_b32 s21, s16, 2.0
	s_lshl_b64 s[18:19], s[18:19], 1
	s_or_b32 s18, s18, 1
	v_cmp_lt_u64_e64 s20, s[18:19], s[22:23]
	s_and_b32 s20, s20, exec_lo
	s_cselect_b32 s20, 0, s22
	s_cselect_b32 s16, s16, s21
	s_cselect_b32 s21, 0, 0
	s_sub_u32 s18, s18, s20
	s_subb_u32 s19, s19, s21
	s_or_b32 s21, s16, 0x20000000
	s_lshl_b64 s[18:19], s[18:19], 1
	s_or_b32 s18, s18, 1
	v_cmp_lt_u64_e64 s20, s[18:19], s[22:23]
	s_and_b32 s20, s20, exec_lo
	s_cselect_b32 s20, 0, s22
	s_cselect_b32 s16, s16, s21
	s_cselect_b32 s21, 0, 0
	s_sub_u32 s18, s18, s20
	s_subb_u32 s19, s19, s21
	s_or_b32 s21, s16, 0x10000000
	;; [unrolled: 10-line block ×29, first 2 shown]
	s_lshl_b64 s[18:19], s[18:19], 1
	s_or_b32 s18, s18, 1
	v_cmp_lt_u64_e64 s20, s[18:19], s[22:23]
	s_and_b32 s20, s20, exec_lo
	s_cselect_b32 s20, 0, s22
	s_cselect_b32 s16, s16, s21
	;; [unrolled: 1-line block ×3, first 2 shown]
	s_sub_u32 s18, s18, s20
	s_subb_u32 s19, s19, s21
	s_lshl_b64 s[18:19], s[18:19], 1
	s_or_b32 s18, s18, 1
	v_cmp_ge_u64_e64 s18, s[18:19], s[22:23]
	v_cndmask_b32_e64 v2, 0, 1, s18
	v_or_b32_e32 v8, s16, v2
.LBB4_640:                              ;   in Loop: Header=BB4_497 Depth=2
	v_ashrrev_i32_e32 v2, 31, v53
	s_mov_b32 s24, exec_lo
	v_lshrrev_b32_e32 v2, 22, v2
	v_add_nc_u32_e32 v2, v53, v2
	v_ashrrev_i32_e32 v80, 10, v2
	v_sub_nc_u32_e32 v82, v80, v97
	v_cmpx_lt_i32_e32 0, v82
	s_cbranch_execz .LBB4_644
; %bb.641:                              ;   in Loop: Header=BB4_497 Depth=2
	s_trap 2
	ds_read_b64 v[68:69], v0
	v_add_co_u32 v10, vcc_lo, v64, v113
	v_add_co_ci_u32_e64 v11, null, 0, v65, vcc_lo
	s_cmp_lt_i32 s76, 0
	s_mov_b32 s78, 0
	s_cselect_b32 s79, -1, 0
	s_waitcnt lgkmcnt(0)
	v_add_co_u32 v68, vcc_lo, v68, v113
	v_add_co_ci_u32_e64 v69, null, 0, v69, vcc_lo
	v_add_co_u32 v70, vcc_lo, v66, v113
	v_add_co_ci_u32_e64 v71, null, 0, v67, vcc_lo
.LBB4_642:                              ;   Parent Loop BB4_47 Depth=1
                                        ;     Parent Loop BB4_497 Depth=2
                                        ; =>    This Inner Loop Header: Depth=3
	global_load_dwordx4 v[44:47], v[68:69], off slc
	s_clause 0x1
	global_load_dwordx4 v[56:59], v[10:11], off slc
	global_load_dwordx4 v[60:63], v[10:11], off offset:512 slc
	global_load_dwordx4 v[72:75], v[68:69], off offset:512 slc
	v_mov_b32_e32 v76, v3
	v_mov_b32_e32 v77, v3
	v_sub_nc_u32_e32 v82, v82, v87
	v_mov_b32_e32 v78, v3
	v_mov_b32_e32 v79, v3
	v_add_co_u32 v10, vcc_lo, v10, v112
	v_add_co_ci_u32_e64 v11, null, 0, v11, vcc_lo
	v_add_co_u32 v68, vcc_lo, v68, v112
	v_add_co_ci_u32_e64 v69, null, 0, v69, vcc_lo
	v_cmp_gt_i32_e32 vcc_lo, 1, v82
	s_waitcnt vmcnt(2)
	v_add_co_u32 v44, s16, v44, v56
	v_add_co_ci_u32_e64 v45, null, v45, v57, s16
	v_add_co_u32 v46, s16, v46, v58
	v_add_co_ci_u32_e64 v47, null, v47, v59, s16
	s_waitcnt vmcnt(0)
	v_add_co_u32 v56, s16, v72, v60
	v_add_co_ci_u32_e64 v57, null, v73, v61, s16
	v_add_co_u32 v58, s16, v74, v62
	v_add_co_ci_u32_e64 v59, null, v75, v63, s16
	v_cmp_gt_i64_e64 s16, 0, v[44:45]
	v_sub_co_u32 v2, s17, 0, v44
	v_sub_co_ci_u32_e64 v81, null, 0, v45, s17
	v_cmp_gt_i64_e64 s17, 0, v[46:47]
	s_and_b32 s16, s79, s16
	v_sub_co_u32 v83, s18, 0, v46
	v_cndmask_b32_e64 v74, v44, v2, s16
	v_cndmask_b32_e64 v73, v45, v81, s16
	v_sub_co_ci_u32_e64 v60, null, 0, v47, s18
	s_and_b32 s17, s79, s17
	v_mul_hi_u32 v2, v74, v8
	v_cndmask_b32_e64 v83, v46, v83, s17
	v_cndmask_b32_e64 v60, v47, v60, s17
	v_sub_co_u32 v63, s20, 0, v58
	v_sub_co_ci_u32_e64 v72, null, 0, v59, s20
	v_cmp_gt_i64_e64 s18, 0, v[56:57]
	v_mad_u64_u32 v[44:45], null, v73, v8, v[2:3]
	v_sub_co_u32 v61, s19, 0, v56
	v_sub_co_ci_u32_e64 v62, null, 0, v57, s19
	v_cmp_gt_i64_e64 s19, 0, v[58:59]
	s_and_b32 s18, s79, s18
	v_mov_b32_e32 v2, v44
	v_mov_b32_e32 v75, v45
	v_cndmask_b32_e64 v61, v56, v61, s18
	v_cndmask_b32_e64 v62, v57, v62, s18
	s_and_b32 s19, s79, s19
	v_mad_u64_u32 v[44:45], null, v74, v9, v[2:3]
	v_mad_u64_u32 v[46:47], null, v73, v9, v[75:76]
	v_mul_hi_u32 v2, v83, v8
	v_cndmask_b32_e64 v72, v59, v72, s19
	v_cndmask_b32_e64 v63, v58, v63, s19
	s_or_b32 s78, vcc_lo, s78
	v_add_co_u32 v75, s20, v46, v45
	v_mad_u64_u32 v[44:45], null, v60, v8, v[2:3]
	v_add_co_ci_u32_e64 v88, null, 0, v47, s20
	v_mad_u64_u32 v[46:47], null, v75, s22, 0
	v_mov_b32_e32 v2, v44
	v_mov_b32_e32 v76, v45
	;; [unrolled: 1-line block ×3, first 2 shown]
	v_mad_u64_u32 v[44:45], null, v83, v9, v[2:3]
	v_mad_u64_u32 v[56:57], null, v60, v9, v[76:77]
	v_mad_u64_u32 v[58:59], null, v88, s22, v[81:82]
	v_mul_hi_u32 v2, v61, v8
	v_sub_co_u32 v44, s20, v74, v46
	v_add_co_u32 v74, s21, v56, v45
	v_sub_co_ci_u32_e64 v45, null, v73, v58, s20
	v_mad_u64_u32 v[46:47], null, v62, v8, v[2:3]
	v_add_co_ci_u32_e64 v76, null, 0, v57, s21
	v_mad_u64_u32 v[56:57], null, v74, s22, 0
	v_cmp_le_u64_e64 s20, s[22:23], v[44:45]
	v_mov_b32_e32 v2, v46
	v_mov_b32_e32 v77, v47
	v_cndmask_b32_e64 v58, 0, 1, s20
	v_mov_b32_e32 v81, v57
	v_mad_u64_u32 v[44:45], null, v61, v9, v[2:3]
	v_mad_u64_u32 v[46:47], null, v62, v9, v[77:78]
	v_add_co_u32 v44, s20, v75, v58
	v_mad_u64_u32 v[57:58], null, v76, s22, v[81:82]
	v_mul_hi_u32 v2, v63, v8
	v_add_co_ci_u32_e64 v59, null, 0, v88, s20
	v_sub_co_u32 v56, s20, v83, v56
	v_sub_co_u32 v81, s21, 0, v44
	v_sub_co_ci_u32_e64 v83, null, 0, v59, s21
	v_add_co_u32 v73, s21, v46, v45
	v_sub_co_ci_u32_e64 v57, null, v60, v57, s20
	v_add_co_ci_u32_e64 v75, null, 0, v47, s21
	v_mad_u64_u32 v[46:47], null, v72, v8, v[2:3]
	v_cndmask_b32_e64 v45, v59, v83, s16
	v_cndmask_b32_e64 v44, v44, v81, s16
	v_cmp_le_u64_e64 s16, s[22:23], v[56:57]
	v_mad_u64_u32 v[58:59], null, v73, s22, 0
	v_mov_b32_e32 v2, v46
	v_mov_b32_e32 v78, v47
	v_cndmask_b32_e64 v83, 0, 1, s16
	v_mad_u64_u32 v[46:47], null, v63, v9, v[2:3]
	v_mad_u64_u32 v[56:57], null, v72, v9, v[78:79]
	v_mov_b32_e32 v81, v59
	v_add_co_u32 v2, s16, v74, v83
	v_add_co_ci_u32_e64 v83, null, 0, v76, s16
	v_mad_u64_u32 v[59:60], null, v75, s22, v[81:82]
	v_sub_co_u32 v81, s20, 0, v2
	v_sub_co_ci_u32_e64 v46, null, 0, v83, s20
	v_add_co_u32 v60, s20, v56, v47
	v_sub_co_u32 v58, s16, v61, v58
	v_add_co_ci_u32_e64 v61, null, 0, v57, s20
	v_mad_u64_u32 v[56:57], null, v60, s22, 0
	v_sub_co_ci_u32_e64 v59, null, v62, v59, s16
	v_cndmask_b32_e64 v47, v83, v46, s17
	v_cndmask_b32_e64 v46, v2, v81, s17
	v_cmp_le_u64_e64 s16, s[22:23], v[58:59]
	v_mov_b32_e32 v2, v57
	global_store_dwordx4 v[70:71], v[44:47], off glc slc
	v_cndmask_b32_e64 v81, 0, 1, s16
	v_mad_u64_u32 v[46:47], null, v61, s22, v[2:3]
	v_add_co_u32 v81, s16, v73, v81
	v_add_co_ci_u32_e64 v83, null, 0, v75, s16
	v_sub_co_u32 v56, s16, v63, v56
	v_sub_co_ci_u32_e64 v57, null, v72, v46, s16
	v_sub_co_u32 v2, s17, 0, v81
	v_sub_co_ci_u32_e64 v44, null, 0, v83, s17
	v_cmp_le_u64_e64 s16, s[22:23], v[56:57]
	v_cndmask_b32_e64 v45, v83, v44, s18
	v_cndmask_b32_e64 v44, v81, v2, s18
	;; [unrolled: 1-line block ×3, first 2 shown]
	v_add_co_u32 v2, s16, v60, v2
	v_add_co_ci_u32_e64 v81, null, 0, v61, s16
	v_sub_co_u32 v83, s16, 0, v2
	v_sub_co_ci_u32_e64 v46, null, 0, v81, s16
	v_cndmask_b32_e64 v47, v81, v46, s19
	v_cndmask_b32_e64 v46, v2, v83, s19
	global_store_dwordx4 v[70:71], v[44:47], off offset:512 glc slc
	v_add_co_u32 v70, s16, v70, v112
	v_add_co_ci_u32_e64 v71, null, 0, v71, s16
	s_andn2_b32 exec_lo, exec_lo, s78
	s_cbranch_execnz .LBB4_642
; %bb.643:                              ;   in Loop: Header=BB4_497 Depth=2
	s_or_b32 exec_lo, exec_lo, s78
.LBB4_644:                              ;   in Loop: Header=BB4_497 Depth=2
	s_or_b32 exec_lo, exec_lo, s24
	v_lshlrev_b32_e32 v83, 10, v80
	s_mov_b32 s21, exec_lo
                                        ; implicit-def: $vgpr80
                                        ; implicit-def: $vgpr2
                                        ; implicit-def: $vgpr81
	v_cmpx_ne_u32_e64 v53, v83
	s_cbranch_execz .LBB4_657
; %bb.645:                              ;   in Loop: Header=BB4_497 Depth=2
	v_mov_b32_e32 v8, -1
	v_mov_b32_e32 v9, -1
	s_cmp_lt_i32 s22, 1
	s_cbranch_scc1 .LBB4_650
; %bb.646:                              ;   in Loop: Header=BB4_497 Depth=2
	s_cmp_lg_u32 s22, 1
	s_cbranch_scc1 .LBB4_648
; %bb.647:                              ;   in Loop: Header=BB4_497 Depth=2
	s_mov_b32 s24, s23
	s_mov_b64 s[18:19], 1
	s_mov_b64 s[16:17], s[24:25]
	s_branch .LBB4_649
.LBB4_648:                              ;   in Loop: Header=BB4_497 Depth=2
	s_mov_b64 s[18:19], 3
	s_mov_b64 s[16:17], 0
.LBB4_649:                              ;   in Loop: Header=BB4_497 Depth=2
	v_cmp_lt_u64_e64 s19, s[18:19], s[22:23]
	s_or_b32 s20, s17, 2.0
	s_and_b32 s19, s19, exec_lo
	s_cselect_b32 s19, 0, s22
	s_cselect_b32 s17, s17, s20
	s_sub_i32 s18, s18, s19
	s_mov_b32 s19, s23
	s_lshl_b32 s18, s18, 1
	s_or_b32 s20, s17, 0x20000000
	s_or_b32 s18, s18, 1
	v_cmp_lt_u64_e64 s19, s[18:19], s[22:23]
	s_and_b32 s19, s19, exec_lo
	s_cselect_b32 s19, 0, s22
	s_cselect_b32 s17, s17, s20
	s_cselect_b32 s20, 0, 0
	s_sub_u32 s18, s18, s19
	s_subb_u32 s19, 0, s20
	s_or_b32 s24, s17, 0x10000000
	s_lshl_b64 s[18:19], s[18:19], 1
	s_or_b32 s18, s18, 1
	v_cmp_lt_u64_e64 s20, s[18:19], s[22:23]
	s_and_b32 s20, s20, exec_lo
	s_cselect_b32 s20, 0, s22
	s_cselect_b32 s17, s17, s24
	s_cselect_b32 s24, 0, 0
	s_sub_u32 s18, s18, s20
	s_subb_u32 s19, s19, s24
	s_or_b32 s24, s17, 0x8000000
	s_lshl_b64 s[18:19], s[18:19], 1
	;; [unrolled: 10-line block ×30, first 2 shown]
	v_mov_b32_e32 v9, s17
	s_or_b32 s18, s18, 1
	v_cmp_lt_u64_e64 s20, s[18:19], s[22:23]
	s_and_b32 s20, s20, exec_lo
	s_cselect_b32 s20, 0, s22
	s_cselect_b32 s16, s16, s24
	;; [unrolled: 1-line block ×3, first 2 shown]
	s_sub_u32 s18, s18, s20
	s_subb_u32 s19, s19, s24
	s_or_b32 s24, s16, 2.0
	s_lshl_b64 s[18:19], s[18:19], 1
	s_or_b32 s18, s18, 1
	v_cmp_lt_u64_e64 s20, s[18:19], s[22:23]
	s_and_b32 s20, s20, exec_lo
	s_cselect_b32 s20, 0, s22
	s_cselect_b32 s16, s16, s24
	s_cselect_b32 s24, 0, 0
	s_sub_u32 s18, s18, s20
	s_subb_u32 s19, s19, s24
	s_or_b32 s24, s16, 0x20000000
	s_lshl_b64 s[18:19], s[18:19], 1
	s_or_b32 s18, s18, 1
	v_cmp_lt_u64_e64 s20, s[18:19], s[22:23]
	s_and_b32 s20, s20, exec_lo
	s_cselect_b32 s20, 0, s22
	s_cselect_b32 s16, s16, s24
	s_cselect_b32 s24, 0, 0
	s_sub_u32 s18, s18, s20
	s_subb_u32 s19, s19, s24
	s_or_b32 s24, s16, 0x10000000
	;; [unrolled: 10-line block ×29, first 2 shown]
	s_lshl_b64 s[18:19], s[18:19], 1
	s_or_b32 s18, s18, 1
	v_cmp_lt_u64_e64 s20, s[18:19], s[22:23]
	s_and_b32 s20, s20, exec_lo
	s_cselect_b32 s20, 0, s22
	s_cselect_b32 s16, s16, s24
	;; [unrolled: 1-line block ×3, first 2 shown]
	s_sub_u32 s18, s18, s20
	s_subb_u32 s19, s19, s24
	s_lshl_b64 s[18:19], s[18:19], 1
	s_or_b32 s18, s18, 1
	v_cmp_ge_u64_e64 s18, s[18:19], s[22:23]
	v_cndmask_b32_e64 v2, 0, 1, s18
	v_or_b32_e32 v8, s16, v2
.LBB4_650:                              ;   in Loop: Header=BB4_497 Depth=2
	v_lshlrev_b32_e32 v2, 5, v82
	v_sub_nc_u32_e32 v11, v53, v83
	s_mov_b32 s24, exec_lo
	v_sub_nc_u32_e32 v2, v96, v2
	v_ashrrev_i32_e32 v68, 31, v11
	v_ashrrev_i32_e32 v10, 31, v2
	v_lshrrev_b32_e32 v68, 23, v68
	v_lshrrev_b32_e32 v10, 27, v10
	v_add_nc_u32_e32 v68, v11, v68
	v_add_nc_u32_e32 v10, v2, v10
	v_and_b32_e32 v82, 0xfffffe00, v68
	v_ashrrev_i32_e32 v68, 9, v68
	v_and_b32_e32 v69, 0xffffffe0, v10
	v_sub_nc_u32_e32 v45, v11, v82
	v_ashrrev_i32_e32 v10, 5, v10
	v_sub_nc_u32_e32 v44, v2, v69
	v_cmp_lt_i32_e32 vcc_lo, 15, v45
	v_lshlrev_b32_e32 v2, 4, v44
	v_add_co_ci_u32_e64 v68, null, 0, v68, vcc_lo
	v_lshl_add_u32 v2, v10, 9, v2
	v_sub_nc_u32_e32 v46, v68, v10
	v_sub_nc_u32_e32 v80, v11, v2
	v_cmpx_lt_i32_e32 15, v80
	s_cbranch_execz .LBB4_654
; %bb.651:                              ;   in Loop: Header=BB4_497 Depth=2
	s_trap 2
	ds_read_b64 v[68:69], v0
	v_add_nc_u32_e32 v2, v2, v83
	s_cmp_lt_i32 s76, 0
	s_mov_b32 s78, 0
	s_cselect_b32 s79, -1, 0
	v_ashrrev_i32_e32 v71, 31, v2
	v_add_co_u32 v10, s16, v2, v64
	v_add_co_ci_u32_e64 v11, null, v71, v65, s16
	s_waitcnt lgkmcnt(0)
	v_add_co_u32 v68, s16, v68, v2
	v_add_co_ci_u32_e64 v69, null, v69, v71, s16
	v_add_co_u32 v70, s16, v2, v66
	v_add_co_ci_u32_e64 v71, null, v71, v67, s16
.LBB4_652:                              ;   Parent Loop BB4_47 Depth=1
                                        ;     Parent Loop BB4_497 Depth=2
                                        ; =>    This Inner Loop Header: Depth=3
	global_load_dwordx4 v[56:59], v[10:11], off slc
	global_load_dwordx4 v[60:63], v[68:69], off slc
	v_mov_b32_e32 v73, v3
	v_mov_b32_e32 v74, v3
	v_sub_nc_u32_e32 v80, v80, v102
	v_add_co_u32 v10, s16, v10, v102
	v_add_co_ci_u32_e64 v11, null, 0, v11, s16
	v_add_co_u32 v68, s16, v68, v102
	v_add_co_ci_u32_e64 v69, null, 0, v69, s16
	v_cmp_gt_i32_e64 s16, 16, v80
	v_sub_nc_u32_e32 v46, v46, v87
	s_waitcnt vmcnt(0)
	v_add_co_u32 v56, s17, v60, v56
	v_add_co_ci_u32_e64 v57, null, v61, v57, s17
	v_add_co_u32 v58, s17, v62, v58
	v_add_co_ci_u32_e64 v59, null, v63, v59, s17
	v_cmp_gt_i64_e64 s17, 0, v[56:57]
	v_sub_co_u32 v2, s18, 0, v56
	v_sub_co_ci_u32_e64 v81, null, 0, v57, s18
	v_cmp_gt_i64_e64 s18, 0, v[58:59]
	s_and_b32 s17, s79, s17
	v_sub_co_u32 v47, s19, 0, v58
	v_cndmask_b32_e64 v76, v56, v2, s17
	v_cndmask_b32_e64 v63, v57, v81, s17
	v_sub_co_ci_u32_e64 v60, null, 0, v59, s19
	s_and_b32 s18, s79, s18
	v_mul_hi_u32 v2, v76, v8
	v_cndmask_b32_e64 v47, v58, v47, s18
	v_cndmask_b32_e64 v75, v59, v60, s18
	s_or_b32 s78, s16, s78
	v_mad_u64_u32 v[56:57], null, v63, v8, v[2:3]
	v_mov_b32_e32 v2, v56
	v_mov_b32_e32 v72, v57
	v_mad_u64_u32 v[56:57], null, v76, v9, v[2:3]
	v_mad_u64_u32 v[58:59], null, v63, v9, v[72:73]
	v_mul_hi_u32 v2, v47, v8
	v_add_co_u32 v72, s19, v58, v57
	v_mad_u64_u32 v[56:57], null, v75, v8, v[2:3]
	v_add_co_ci_u32_e64 v77, null, 0, v59, s19
	v_mad_u64_u32 v[58:59], null, v72, s22, 0
	v_mov_b32_e32 v2, v56
	v_mov_b32_e32 v73, v57
	;; [unrolled: 1-line block ×3, first 2 shown]
	v_mad_u64_u32 v[56:57], null, v47, v9, v[2:3]
	v_mad_u64_u32 v[59:60], null, v75, v9, v[73:74]
	;; [unrolled: 1-line block ×3, first 2 shown]
	v_sub_co_u32 v56, s19, v76, v58
	v_add_co_u32 v81, s20, v59, v57
	v_sub_co_ci_u32_e64 v57, null, v63, v61, s19
	v_add_co_ci_u32_e64 v62, null, 0, v60, s20
	v_mad_u64_u32 v[58:59], null, v81, s22, 0
	v_cmp_le_u64_e64 s19, s[22:23], v[56:57]
	v_mov_b32_e32 v2, v59
	v_cndmask_b32_e64 v56, 0, 1, s19
	v_mad_u64_u32 v[59:60], null, v62, s22, v[2:3]
	v_add_co_u32 v56, s19, v72, v56
	v_add_co_ci_u32_e64 v57, null, 0, v77, s19
	v_sub_co_u32 v58, s19, v47, v58
	v_sub_co_u32 v2, s20, 0, v56
	v_sub_co_ci_u32_e64 v47, null, 0, v57, s20
	v_sub_co_ci_u32_e64 v59, null, v75, v59, s19
	v_cndmask_b32_e64 v56, v56, v2, s17
	v_cndmask_b32_e64 v57, v57, v47, s17
	v_cmp_le_u64_e64 s17, s[22:23], v[58:59]
	v_cndmask_b32_e64 v2, 0, 1, s17
	v_add_co_u32 v2, s17, v81, v2
	v_add_co_ci_u32_e64 v81, null, 0, v62, s17
	v_sub_co_u32 v47, s17, 0, v2
	v_sub_co_ci_u32_e64 v58, null, 0, v81, s17
	v_cndmask_b32_e64 v59, v81, v58, s18
	v_cndmask_b32_e64 v58, v2, v47, s18
	global_store_dwordx4 v[70:71], v[56:59], off glc slc
	v_add_co_u32 v70, s17, v70, v102
	v_add_co_ci_u32_e64 v71, null, 0, v71, s17
	s_andn2_b32 exec_lo, exec_lo, s78
	s_cbranch_execnz .LBB4_652
; %bb.653:                              ;   in Loop: Header=BB4_497 Depth=2
	s_or_b32 exec_lo, exec_lo, s78
.LBB4_654:                              ;   in Loop: Header=BB4_497 Depth=2
	s_or_b32 exec_lo, exec_lo, s24
	v_and_b32_e32 v8, 8, v53
	s_mov_b32 s18, s77
	s_mov_b32 s17, exec_lo
                                        ; implicit-def: $vgpr80
                                        ; implicit-def: $vgpr2
                                        ; implicit-def: $vgpr81
	v_cndmask_b32_e32 v53, v45, v8, vcc_lo
	v_cmpx_ne_u32_e32 0, v53
	s_cbranch_execz .LBB4_656
; %bb.655:                              ;   in Loop: Header=BB4_497 Depth=2
	v_cmp_lt_i32_e64 s16, 0, v46
	v_sub_nc_u32_e32 v8, v45, v8
	s_or_b32 s18, s77, exec_lo
	v_cndmask_b32_e64 v2, 0, v87, s16
	v_cndmask_b32_e32 v8, 0, v8, vcc_lo
	v_sub_nc_u32_e32 v2, v2, v46
	v_add3_u32 v80, v82, v83, v8
	v_lshl_add_u32 v2, v2, 5, v44
	v_ashrrev_i32_e32 v9, 31, v2
	v_lshrrev_b32_e32 v9, 27, v9
	v_add_nc_u32_e32 v9, v2, v9
	v_and_b32_e32 v9, 0xffffffe0, v9
	v_sub_nc_u32_e32 v81, v2, v9
.LBB4_656:                              ;   in Loop: Header=BB4_497 Depth=2
	s_or_b32 exec_lo, exec_lo, s17
	s_andn2_b32 s16, s77, exec_lo
	s_and_b32 s17, s18, exec_lo
	s_or_b32 s77, s16, s17
.LBB4_657:                              ;   in Loop: Header=BB4_497 Depth=2
	s_or_b32 exec_lo, exec_lo, s21
	s_mov_b64 s[20:21], s[22:23]
	s_and_saveexec_b32 s78, s77
	s_cbranch_execz .LBB4_676
.LBB4_658:                              ;   in Loop: Header=BB4_497 Depth=2
	v_mov_b32_e32 v8, -1
	v_mov_b32_e32 v9, -1
	s_cmp_lt_i32 s22, 1
	s_cbranch_scc1 .LBB4_663
; %bb.659:                              ;   in Loop: Header=BB4_497 Depth=2
	s_cmp_lg_u32 s22, 1
	s_cbranch_scc1 .LBB4_661
; %bb.660:                              ;   in Loop: Header=BB4_497 Depth=2
	s_mov_b32 s24, s23
	s_mov_b64 s[18:19], 1
	s_mov_b64 s[16:17], s[24:25]
	s_branch .LBB4_662
.LBB4_661:                              ;   in Loop: Header=BB4_497 Depth=2
	s_mov_b64 s[18:19], 3
	s_mov_b64 s[16:17], 0
.LBB4_662:                              ;   in Loop: Header=BB4_497 Depth=2
	v_cmp_lt_u64_e64 s19, s[18:19], s[20:21]
	s_or_b32 s24, s17, 2.0
	s_and_b32 s19, s19, exec_lo
	s_cselect_b32 s19, 0, s20
	s_cselect_b32 s17, s17, s24
	s_sub_i32 s18, s18, s19
	s_mov_b32 s19, s23
	s_lshl_b32 s18, s18, 1
	s_or_b32 s24, s17, 0x20000000
	s_or_b32 s18, s18, 1
	v_cmp_lt_u64_e64 s19, s[18:19], s[20:21]
	s_and_b32 s19, s19, exec_lo
	s_cselect_b32 s19, 0, s20
	s_cselect_b32 s17, s17, s24
	s_cselect_b32 s24, 0, s21
	s_sub_u32 s18, s18, s19
	s_subb_u32 s19, 0, s24
	s_or_b32 s77, s17, 0x10000000
	s_lshl_b64 s[18:19], s[18:19], 1
	s_or_b32 s18, s18, 1
	v_cmp_lt_u64_e64 s24, s[18:19], s[20:21]
	s_and_b32 s24, s24, exec_lo
	s_cselect_b32 s24, 0, s20
	s_cselect_b32 s17, s17, s77
	s_cselect_b32 s77, 0, s21
	s_sub_u32 s18, s18, s24
	s_subb_u32 s19, s19, s77
	s_or_b32 s77, s17, 0x8000000
	s_lshl_b64 s[18:19], s[18:19], 1
	;; [unrolled: 10-line block ×30, first 2 shown]
	v_mov_b32_e32 v9, s17
	s_or_b32 s18, s18, 1
	v_cmp_lt_u64_e64 s24, s[18:19], s[20:21]
	s_and_b32 s24, s24, exec_lo
	s_cselect_b32 s24, 0, s20
	s_cselect_b32 s16, s16, s77
	s_cselect_b32 s77, 0, s21
	s_sub_u32 s18, s18, s24
	s_subb_u32 s19, s19, s77
	s_or_b32 s77, s16, 2.0
	s_lshl_b64 s[18:19], s[18:19], 1
	s_or_b32 s18, s18, 1
	v_cmp_lt_u64_e64 s24, s[18:19], s[20:21]
	s_and_b32 s24, s24, exec_lo
	s_cselect_b32 s24, 0, s20
	s_cselect_b32 s16, s16, s77
	s_cselect_b32 s77, 0, s21
	s_sub_u32 s18, s18, s24
	s_subb_u32 s19, s19, s77
	s_or_b32 s77, s16, 0x20000000
	s_lshl_b64 s[18:19], s[18:19], 1
	s_or_b32 s18, s18, 1
	v_cmp_lt_u64_e64 s24, s[18:19], s[20:21]
	s_and_b32 s24, s24, exec_lo
	s_cselect_b32 s24, 0, s20
	s_cselect_b32 s16, s16, s77
	s_cselect_b32 s77, 0, s21
	s_sub_u32 s18, s18, s24
	s_subb_u32 s19, s19, s77
	s_or_b32 s77, s16, 0x10000000
	;; [unrolled: 10-line block ×29, first 2 shown]
	s_lshl_b64 s[18:19], s[18:19], 1
	s_or_b32 s18, s18, 1
	v_cmp_lt_u64_e64 s24, s[18:19], s[20:21]
	s_and_b32 s24, s24, exec_lo
	s_cselect_b32 s24, 0, s20
	s_cselect_b32 s16, s16, s77
	;; [unrolled: 1-line block ×3, first 2 shown]
	s_sub_u32 s18, s18, s24
	s_subb_u32 s19, s19, s77
	s_lshl_b64 s[18:19], s[18:19], 1
	s_or_b32 s18, s18, 1
	v_cmp_ge_u64_e64 s18, s[18:19], s[20:21]
	v_cndmask_b32_e64 v8, 0, 1, s18
	v_or_b32_e32 v8, s16, v8
.LBB4_663:                              ;   in Loop: Header=BB4_497 Depth=2
	v_ashrrev_i32_e32 v10, 31, v2
	v_ashrrev_i32_e32 v11, 31, v53
	s_mov_b32 s19, exec_lo
	v_lshrrev_b32_e32 v10, 27, v10
	v_lshrrev_b32_e32 v11, 23, v11
	v_add_nc_u32_e32 v2, v2, v10
	v_add_nc_u32_e32 v10, v53, v11
	v_ashrrev_i32_e32 v2, 5, v2
	v_ashrrev_i32_e32 v83, 9, v10
	v_sub_nc_u32_e32 v82, v83, v2
	v_cmpx_lt_i32_e32 0, v82
	s_cbranch_execz .LBB4_667
; %bb.664:                              ;   in Loop: Header=BB4_497 Depth=2
	s_trap 2
	ds_read_b64 v[68:69], v0
	v_lshlrev_b32_e32 v2, 9, v2
	v_lshlrev_b32_e32 v10, 3, v81
	s_cmp_lt_i32 s76, 0
	s_mov_b32 s24, 0
	s_cselect_b32 s77, -1, 0
	v_add3_u32 v2, v80, v10, v2
	v_ashrrev_i32_e32 v71, 31, v2
	v_add_co_u32 v10, vcc_lo, v2, v64
	v_add_co_ci_u32_e64 v11, null, v71, v65, vcc_lo
	s_waitcnt lgkmcnt(0)
	v_add_co_u32 v68, vcc_lo, v68, v2
	v_add_co_ci_u32_e64 v69, null, v69, v71, vcc_lo
	v_add_co_u32 v70, vcc_lo, v2, v66
	v_add_co_ci_u32_e64 v71, null, v71, v67, vcc_lo
.LBB4_665:                              ;   Parent Loop BB4_47 Depth=1
                                        ;     Parent Loop BB4_497 Depth=2
                                        ; =>    This Inner Loop Header: Depth=3
	flat_load_dwordx2 v[44:45], v[68:69] slc
	s_clause 0x1
	flat_load_dwordx2 v[46:47], v[10:11] slc
	flat_load_dwordx2 v[56:57], v[10:11] offset:256 slc
	flat_load_dwordx2 v[58:59], v[68:69] offset:256 slc
	v_mov_b32_e32 v60, v3
	v_mov_b32_e32 v61, v3
	v_sub_nc_u32_e32 v82, v82, v87
	v_add_co_u32 v10, vcc_lo, v10, v102
	v_add_co_ci_u32_e64 v11, null, 0, v11, vcc_lo
	v_add_co_u32 v68, vcc_lo, v68, v102
	v_add_co_ci_u32_e64 v69, null, 0, v69, vcc_lo
	v_cmp_gt_i32_e32 vcc_lo, 1, v82
	s_waitcnt vmcnt(2) lgkmcnt(2)
	v_add_co_u32 v44, s16, v44, v46
	v_add_co_ci_u32_e64 v45, null, v45, v47, s16
	s_waitcnt vmcnt(0) lgkmcnt(0)
	v_add_co_u32 v46, s16, v58, v56
	v_add_co_ci_u32_e64 v47, null, v59, v57, s16
	v_cmp_gt_i64_e64 s16, 0, v[44:45]
	v_sub_co_u32 v2, s17, 0, v44
	v_sub_co_ci_u32_e64 v56, null, 0, v45, s17
	v_cmp_gt_i64_e64 s17, 0, v[46:47]
	s_and_b32 s16, s77, s16
	v_sub_co_u32 v57, s18, 0, v46
	v_cndmask_b32_e64 v63, v44, v2, s16
	v_cndmask_b32_e64 v62, v45, v56, s16
	v_sub_co_ci_u32_e64 v58, null, 0, v47, s18
	s_and_b32 s17, s77, s17
	v_mul_hi_u32 v2, v63, v8
	v_cndmask_b32_e64 v72, v46, v57, s17
	v_cndmask_b32_e64 v58, v47, v58, s17
	s_or_b32 s24, vcc_lo, s24
	v_mad_u64_u32 v[44:45], null, v62, v8, v[2:3]
	v_mov_b32_e32 v2, v44
	v_mov_b32_e32 v59, v45
	v_mad_u64_u32 v[44:45], null, v63, v9, v[2:3]
	v_mad_u64_u32 v[46:47], null, v62, v9, v[59:60]
	v_mul_hi_u32 v2, v72, v8
	v_add_co_u32 v59, s18, v46, v45
	v_add_co_ci_u32_e64 v73, null, 0, v47, s18
	v_mad_u64_u32 v[44:45], null, v58, v8, v[2:3]
	v_mul_lo_u32 v75, v59, s21
	v_mul_lo_u32 v74, v73, s20
	v_mad_u64_u32 v[46:47], null, v59, s20, 0
	v_mov_b32_e32 v2, v44
	v_mov_b32_e32 v60, v45
	v_sub_co_u32 v46, s18, v63, v46
	v_mad_u64_u32 v[44:45], null, v72, v9, v[2:3]
	v_mad_u64_u32 v[56:57], null, v58, v9, v[60:61]
	v_add3_u32 v2, v47, v75, v74
	v_sub_co_ci_u32_e64 v47, null, v62, v2, s18
	v_add_co_u32 v2, s18, v56, v45
	v_add_co_ci_u32_e64 v56, null, 0, v57, s18
	v_cmp_le_u64_e64 s18, s[20:21], v[46:47]
	v_mul_lo_u32 v57, v2, s21
	v_mad_u64_u32 v[44:45], null, v2, s20, 0
	v_mul_lo_u32 v47, v56, s20
	v_cndmask_b32_e64 v46, 0, 1, s18
	v_add_co_u32 v46, s18, v59, v46
	v_add_co_ci_u32_e64 v59, null, 0, v73, s18
	v_add3_u32 v45, v45, v57, v47
	v_sub_co_u32 v60, s18, 0, v46
	v_sub_co_ci_u32_e64 v61, null, 0, v59, s18
	v_sub_co_u32 v44, s18, v72, v44
	v_sub_co_ci_u32_e64 v45, null, v58, v45, s18
	v_cndmask_b32_e64 v47, v59, v61, s16
	v_cndmask_b32_e64 v46, v46, v60, s16
	v_cmp_le_u64_e64 s16, s[20:21], v[44:45]
	flat_store_dwordx2 v[70:71], v[46:47] glc slc
	v_cndmask_b32_e64 v44, 0, 1, s16
	v_add_co_u32 v2, s16, v2, v44
	v_add_co_ci_u32_e64 v44, null, 0, v56, s16
	v_sub_co_u32 v46, s16, 0, v2
	v_sub_co_ci_u32_e64 v45, null, 0, v44, s16
	v_cndmask_b32_e64 v45, v44, v45, s17
	v_cndmask_b32_e64 v44, v2, v46, s17
	flat_store_dwordx2 v[70:71], v[44:45] offset:256 glc slc
	v_add_co_u32 v70, s16, v70, v102
	v_add_co_ci_u32_e64 v71, null, 0, v71, s16
	s_andn2_b32 exec_lo, exec_lo, s24
	s_cbranch_execnz .LBB4_665
; %bb.666:                              ;   in Loop: Header=BB4_497 Depth=2
	s_or_b32 exec_lo, exec_lo, s24
.LBB4_667:                              ;   in Loop: Header=BB4_497 Depth=2
	s_or_b32 exec_lo, exec_lo, s19
	v_lshlrev_b32_e32 v2, 9, v83
	v_cmp_ne_u32_e32 vcc_lo, v53, v2
	s_and_b32 exec_lo, exec_lo, vcc_lo
	s_cbranch_execz .LBB4_676
; %bb.668:                              ;   in Loop: Header=BB4_497 Depth=2
	v_mov_b32_e32 v8, -1
	v_mov_b32_e32 v9, -1
	s_cmp_lt_i32 s22, 1
	s_cbranch_scc1 .LBB4_673
; %bb.669:                              ;   in Loop: Header=BB4_497 Depth=2
	s_cmp_lg_u32 s22, 1
	s_cbranch_scc1 .LBB4_671
; %bb.670:                              ;   in Loop: Header=BB4_497 Depth=2
	s_mov_b32 s24, s23
	s_mov_b64 s[18:19], 1
	s_mov_b64 s[16:17], s[24:25]
	s_branch .LBB4_672
.LBB4_671:                              ;   in Loop: Header=BB4_497 Depth=2
	s_mov_b64 s[18:19], 3
	s_mov_b64 s[16:17], 0
.LBB4_672:                              ;   in Loop: Header=BB4_497 Depth=2
	v_cmp_lt_u64_e64 s19, s[18:19], s[20:21]
	s_or_b32 s22, s17, 2.0
	s_and_b32 s19, s19, exec_lo
	s_cselect_b32 s19, 0, s20
	s_cselect_b32 s17, s17, s22
	s_sub_i32 s18, s18, s19
	s_or_b32 s19, s17, 0x20000000
	s_lshl_b32 s18, s18, 1
	s_or_b32 s22, s18, 1
	v_cmp_lt_u64_e64 s18, s[22:23], s[20:21]
	s_and_b32 s18, s18, exec_lo
	s_cselect_b32 s18, 0, s20
	s_cselect_b32 s17, s17, s19
	s_cselect_b32 s19, 0, s21
	s_sub_u32 s18, s22, s18
	s_subb_u32 s19, 0, s19
	s_or_b32 s24, s17, 0x10000000
	s_lshl_b64 s[18:19], s[18:19], 1
	s_or_b32 s18, s18, 1
	v_cmp_lt_u64_e64 s22, s[18:19], s[20:21]
	s_and_b32 s22, s22, exec_lo
	s_cselect_b32 s22, 0, s20
	s_cselect_b32 s17, s17, s24
	s_cselect_b32 s24, 0, s21
	s_sub_u32 s18, s18, s22
	s_subb_u32 s19, s19, s24
	s_or_b32 s24, s17, 0x8000000
	s_lshl_b64 s[18:19], s[18:19], 1
	;; [unrolled: 10-line block ×30, first 2 shown]
	v_mov_b32_e32 v9, s17
	s_or_b32 s18, s18, 1
	v_cmp_lt_u64_e64 s22, s[18:19], s[20:21]
	s_and_b32 s22, s22, exec_lo
	s_cselect_b32 s22, 0, s20
	s_cselect_b32 s16, s16, s24
	s_cselect_b32 s24, 0, s21
	s_sub_u32 s18, s18, s22
	s_subb_u32 s19, s19, s24
	s_or_b32 s24, s16, 2.0
	s_lshl_b64 s[18:19], s[18:19], 1
	s_or_b32 s18, s18, 1
	v_cmp_lt_u64_e64 s22, s[18:19], s[20:21]
	s_and_b32 s22, s22, exec_lo
	s_cselect_b32 s22, 0, s20
	s_cselect_b32 s16, s16, s24
	s_cselect_b32 s24, 0, s21
	s_sub_u32 s18, s18, s22
	s_subb_u32 s19, s19, s24
	s_or_b32 s24, s16, 0x20000000
	s_lshl_b64 s[18:19], s[18:19], 1
	s_or_b32 s18, s18, 1
	v_cmp_lt_u64_e64 s22, s[18:19], s[20:21]
	s_and_b32 s22, s22, exec_lo
	s_cselect_b32 s22, 0, s20
	s_cselect_b32 s16, s16, s24
	s_cselect_b32 s24, 0, s21
	s_sub_u32 s18, s18, s22
	s_subb_u32 s19, s19, s24
	s_or_b32 s24, s16, 0x10000000
	;; [unrolled: 10-line block ×29, first 2 shown]
	s_lshl_b64 s[18:19], s[18:19], 1
	s_or_b32 s18, s18, 1
	v_cmp_lt_u64_e64 s22, s[18:19], s[20:21]
	s_and_b32 s22, s22, exec_lo
	s_cselect_b32 s22, 0, s20
	s_cselect_b32 s16, s16, s24
	;; [unrolled: 1-line block ×3, first 2 shown]
	s_sub_u32 s18, s18, s22
	s_subb_u32 s19, s19, s24
	s_lshl_b64 s[18:19], s[18:19], 1
	s_or_b32 s18, s18, 1
	v_cmp_ge_u64_e64 s18, s[18:19], s[20:21]
	v_cndmask_b32_e64 v8, 0, 1, s18
	v_or_b32_e32 v8, s16, v8
.LBB4_673:                              ;   in Loop: Header=BB4_497 Depth=2
	v_lshlrev_b32_e32 v10, 5, v82
	v_sub_nc_u32_e32 v10, v81, v10
	v_ashrrev_i32_e32 v11, 31, v10
	v_lshrrev_b32_e32 v11, 27, v11
	v_add_nc_u32_e32 v11, v10, v11
	v_and_b32_e32 v68, 0x1fffffe0, v11
	v_lshlrev_b32_e32 v11, 3, v11
	v_sub_nc_u32_e32 v10, v10, v68
	v_and_b32_e32 v11, 0xffffff00, v11
	v_lshl_add_u32 v10, v10, 3, v11
	v_add_nc_u32_e32 v11, v2, v10
	v_sub_nc_u32_e32 v53, v53, v11
	v_cmp_lt_i32_e32 vcc_lo, 7, v53
	s_and_b32 exec_lo, exec_lo, vcc_lo
	s_cbranch_execz .LBB4_676
; %bb.674:                              ;   in Loop: Header=BB4_497 Depth=2
	s_trap 2
	ds_read_b64 v[68:69], v0
	v_add3_u32 v2, v2, v80, v10
	s_cmp_lt_i32 s76, 0
	s_mov_b32 s18, 0
	s_cselect_b32 s19, -1, 0
	v_ashrrev_i32_e32 v70, 31, v2
	v_add_co_u32 v10, vcc_lo, v2, v64
	v_add_co_ci_u32_e64 v11, null, v70, v65, vcc_lo
	s_waitcnt lgkmcnt(0)
	v_add_co_u32 v64, vcc_lo, v68, v2
	v_add_co_ci_u32_e64 v65, null, v69, v70, vcc_lo
	v_add_co_u32 v66, vcc_lo, v2, v66
	v_add_co_ci_u32_e64 v67, null, v70, v67, vcc_lo
.LBB4_675:                              ;   Parent Loop BB4_47 Depth=1
                                        ;     Parent Loop BB4_497 Depth=2
                                        ; =>    This Inner Loop Header: Depth=3
	flat_load_dwordx2 v[68:69], v[10:11] slc
	flat_load_dwordx2 v[70:71], v[64:65] slc
	v_mov_b32_e32 v81, v3
	v_sub_nc_u32_e32 v53, v53, v103
	v_add_co_u32 v10, vcc_lo, v10, v103
	v_add_co_ci_u32_e64 v11, null, 0, v11, vcc_lo
	v_add_co_u32 v64, vcc_lo, v64, v103
	v_add_co_ci_u32_e64 v65, null, 0, v65, vcc_lo
	v_cmp_gt_i32_e32 vcc_lo, 8, v53
	s_waitcnt vmcnt(0) lgkmcnt(0)
	v_add_co_u32 v68, s16, v70, v68
	v_add_co_ci_u32_e64 v69, null, v71, v69, s16
	v_sub_co_u32 v2, s17, 0, v68
	v_cmp_gt_i64_e64 s16, 0, v[68:69]
	v_sub_co_ci_u32_e64 v70, null, 0, v69, s17
	s_and_b32 s16, s19, s16
	s_or_b32 s18, vcc_lo, s18
	v_cndmask_b32_e64 v83, v68, v2, s16
	v_cndmask_b32_e64 v82, v69, v70, s16
	v_mul_hi_u32 v2, v83, v8
	v_mad_u64_u32 v[68:69], null, v82, v8, v[2:3]
	v_mov_b32_e32 v2, v68
	v_mov_b32_e32 v80, v69
	v_mad_u64_u32 v[68:69], null, v83, v9, v[2:3]
	v_mad_u64_u32 v[70:71], null, v82, v9, v[80:81]
	v_add_co_u32 v2, s17, v70, v69
	v_add_co_ci_u32_e64 v70, null, 0, v71, s17
	v_mul_lo_u32 v80, v2, s21
	v_mad_u64_u32 v[68:69], null, v2, s20, 0
	v_mul_lo_u32 v71, v70, s20
	v_sub_co_u32 v68, s17, v83, v68
	v_add3_u32 v69, v69, v80, v71
	v_sub_co_ci_u32_e64 v69, null, v82, v69, s17
	v_cmp_le_u64_e64 s17, s[20:21], v[68:69]
	v_cndmask_b32_e64 v68, 0, 1, s17
	v_add_co_u32 v2, s17, v2, v68
	v_add_co_ci_u32_e64 v68, null, 0, v70, s17
	v_sub_co_u32 v70, s17, 0, v2
	v_sub_co_ci_u32_e64 v69, null, 0, v68, s17
	v_cndmask_b32_e64 v69, v68, v69, s16
	v_cndmask_b32_e64 v68, v2, v70, s16
	flat_store_dwordx2 v[66:67], v[68:69] glc slc
	v_add_co_u32 v66, s16, v66, v103
	v_add_co_ci_u32_e64 v67, null, 0, v67, s16
	s_andn2_b32 exec_lo, exec_lo, s18
	s_cbranch_execnz .LBB4_675
.LBB4_676:                              ;   in Loop: Header=BB4_497 Depth=2
	s_or_b32 exec_lo, exec_lo, s78
	v_cmp_lt_i32_e64 s16, 0, v51
	s_and_saveexec_b32 s17, s6
	s_cbranch_execz .LBB4_576
.LBB4_677:                              ;   in Loop: Header=BB4_497 Depth=2
	s_and_saveexec_b32 s18, s42
	s_xor_b32 s18, exec_lo, s18
	s_cbranch_execz .LBB4_692
; %bb.678:                              ;   in Loop: Header=BB4_497 Depth=2
	s_and_saveexec_b32 s19, s11
	s_cbranch_execz .LBB4_691
; %bb.679:                              ;   in Loop: Header=BB4_497 Depth=2
	s_mov_b32 s21, exec_lo
	s_mov_b32 s20, exec_lo
	v_mbcnt_lo_u32_b32 v2, s21, 0
	s_waitcnt vmcnt(0) lgkmcnt(0)
	s_waitcnt_vscnt null, 0x0
	buffer_gl1_inv
	buffer_gl0_inv
	v_cmpx_eq_u32_e32 0, v2
	s_cbranch_execz .LBB4_681
; %bb.680:                              ;   in Loop: Header=BB4_497 Depth=2
	s_bcnt1_i32_b32 s21, s21
	v_mov_b32_e32 v2, s21
	ds_add_u64 v0, v[2:3]
	s_trap 2
.LBB4_681:                              ;   in Loop: Header=BB4_497 Depth=2
	s_or_b32 exec_lo, exec_lo, s20
	s_trap 2
	ds_read_b64 v[8:9], v0
	s_waitcnt lgkmcnt(0)
	buffer_gl0_inv
	v_add_co_u32 v12, vcc_lo, v12, v87
	v_add_co_ci_u32_e64 v13, null, 0, v13, vcc_lo
	s_mov_b32 s20, exec_lo
	v_cmpx_lt_u64_e64 v[8:9], v[12:13]
	s_cbranch_execz .LBB4_690
; %bb.682:                              ;   in Loop: Header=BB4_497 Depth=2
	s_mov_b32 s21, 0
	s_mov_b32 s76, 0
                                        ; implicit-def: $sgpr22
                                        ; implicit-def: $sgpr24
	s_inst_prefetch 0x1
	s_branch .LBB4_684
	.p2align	6
.LBB4_683:                              ;   in Loop: Header=BB4_684 Depth=3
	s_or_b32 exec_lo, exec_lo, s78
	s_and_b32 s77, exec_lo, s79
	s_or_b32 s21, s77, s21
	s_andn2_b32 s22, s22, exec_lo
	s_and_b32 s77, s24, exec_lo
	s_or_b32 s22, s22, s77
	s_andn2_b32 exec_lo, exec_lo, s21
	s_cbranch_execz .LBB4_688
.LBB4_684:                              ;   Parent Loop BB4_47 Depth=1
                                        ;     Parent Loop BB4_497 Depth=2
                                        ; =>    This Inner Loop Header: Depth=3
	s_add_i32 s76, s76, 1
	s_cmpk_lg_i32 s76, 0x2710
	s_cselect_b32 s77, -1, 0
	s_and_b32 vcc_lo, exec_lo, s77
	s_cbranch_vccz .LBB4_686
; %bb.685:                              ;   in Loop: Header=BB4_684 Depth=3
	s_mov_b32 s79, -1
	s_or_b32 s24, s24, exec_lo
	s_and_saveexec_b32 s78, s77
	s_cbranch_execz .LBB4_683
	s_branch .LBB4_687
	.p2align	6
.LBB4_686:                              ;   in Loop: Header=BB4_684 Depth=3
	s_trap 2
	ds_read_b64 v[8:9], v0
	s_andn2_b32 s77, s77, exec_lo
	s_mov_b32 s76, 0
	s_waitcnt lgkmcnt(0)
	flat_load_dword v2, v[8:9] glc dlc
	s_waitcnt vmcnt(0) lgkmcnt(0)
	buffer_gl1_inv
	buffer_gl0_inv
	v_cmp_eq_u32_e32 vcc_lo, 0, v2
	s_and_b32 s78, vcc_lo, exec_lo
	s_or_b32 s77, s77, s78
	s_mov_b32 s79, -1
	s_or_b32 s24, s24, exec_lo
	s_and_saveexec_b32 s78, s77
	s_cbranch_execz .LBB4_683
.LBB4_687:                              ;   in Loop: Header=BB4_684 Depth=3
	s_sleep 1
	s_trap 2
	ds_read_b64 v[8:9], v0
	s_waitcnt lgkmcnt(0)
	buffer_gl0_inv
	s_andn2_b32 s24, s24, exec_lo
	v_cmp_ge_u64_e32 vcc_lo, v[8:9], v[12:13]
	s_orn2_b32 s79, vcc_lo, exec_lo
	s_branch .LBB4_683
.LBB4_688:                              ;   in Loop: Header=BB4_497 Depth=2
	s_inst_prefetch 0x2
	s_or_b32 exec_lo, exec_lo, s21
	s_and_saveexec_b32 s21, s22
	s_xor_b32 s21, exec_lo, s21
	s_cbranch_execz .LBB4_690
; %bb.689:                              ;   in Loop: Header=BB4_497 Depth=2
	ds_write_b32 v0, v98
	s_trap 2
.LBB4_690:                              ;   in Loop: Header=BB4_497 Depth=2
	s_or_b32 exec_lo, exec_lo, s20
	;;#ASMSTART
	s_wakeup
	;;#ASMEND
.LBB4_691:                              ;   in Loop: Header=BB4_497 Depth=2
	s_or_b32 exec_lo, exec_lo, s19
.LBB4_692:                              ;   in Loop: Header=BB4_497 Depth=2
	s_andn2_saveexec_b32 s18, s18
	s_cbranch_execz .LBB4_694
; %bb.693:                              ;   in Loop: Header=BB4_497 Depth=2
	s_waitcnt vmcnt(0) lgkmcnt(0)
	s_waitcnt_vscnt null, 0x0
	buffer_gl1_inv
	buffer_gl0_inv
	s_barrier
.LBB4_694:                              ;   in Loop: Header=BB4_497 Depth=2
	s_or_b32 exec_lo, exec_lo, s18
	s_or_b32 exec_lo, exec_lo, s17
                                        ; implicit-def: $vgpr2
	s_and_saveexec_b32 s17, s15
	s_xor_b32 s17, exec_lo, s17
	s_cbranch_execnz .LBB4_577
.LBB4_695:                              ;   in Loop: Header=BB4_497 Depth=2
	s_andn2_saveexec_b32 s16, s17
	s_cbranch_execz .LBB4_714
.LBB4_696:                              ;   in Loop: Header=BB4_497 Depth=2
	s_and_saveexec_b32 s17, s42
	s_xor_b32 s17, exec_lo, s17
	s_cbranch_execz .LBB4_711
; %bb.697:                              ;   in Loop: Header=BB4_497 Depth=2
	s_and_saveexec_b32 s18, s11
	s_cbranch_execz .LBB4_710
; %bb.698:                              ;   in Loop: Header=BB4_497 Depth=2
	s_mov_b32 s20, exec_lo
	s_mov_b32 s19, exec_lo
	v_mbcnt_lo_u32_b32 v2, s20, 0
	;;#ASMSTART
	s_waitcnt lgkmcnt(0) vmcnt(0)
	;;#ASMEND
	v_cmpx_eq_u32_e32 0, v2
	s_cbranch_execz .LBB4_700
; %bb.699:                              ;   in Loop: Header=BB4_497 Depth=2
	s_bcnt1_i32_b32 s20, s20
	v_mov_b32_e32 v2, s20
	s_waitcnt vmcnt(0) lgkmcnt(0)
	s_waitcnt_vscnt null, 0x0
	ds_add_u64 v0, v[2:3]
	s_trap 2
.LBB4_700:                              ;   in Loop: Header=BB4_497 Depth=2
	s_or_b32 exec_lo, exec_lo, s19
	s_trap 2
	ds_read_b64 v[8:9], v0
	s_waitcnt vmcnt(0) lgkmcnt(0)
	buffer_gl0_inv
	v_add_co_u32 v12, vcc_lo, v12, v87
	v_add_co_ci_u32_e64 v13, null, 0, v13, vcc_lo
	s_mov_b32 s19, exec_lo
	v_cmpx_lt_u64_e64 v[8:9], v[12:13]
	s_cbranch_execz .LBB4_709
; %bb.701:                              ;   in Loop: Header=BB4_497 Depth=2
	s_mov_b32 s20, 0
	s_mov_b32 s24, 0
                                        ; implicit-def: $sgpr21
                                        ; implicit-def: $sgpr22
	s_inst_prefetch 0x1
	s_branch .LBB4_703
	.p2align	6
.LBB4_702:                              ;   in Loop: Header=BB4_703 Depth=3
	s_or_b32 exec_lo, exec_lo, s77
	s_and_b32 s76, exec_lo, s78
	s_or_b32 s20, s76, s20
	s_andn2_b32 s21, s21, exec_lo
	s_and_b32 s76, s22, exec_lo
	s_or_b32 s21, s21, s76
	s_andn2_b32 exec_lo, exec_lo, s20
	s_cbranch_execz .LBB4_707
.LBB4_703:                              ;   Parent Loop BB4_47 Depth=1
                                        ;     Parent Loop BB4_497 Depth=2
                                        ; =>    This Inner Loop Header: Depth=3
	s_add_i32 s24, s24, 1
	s_cmpk_lg_i32 s24, 0x2710
	s_cselect_b32 s76, -1, 0
	s_and_b32 vcc_lo, exec_lo, s76
	s_cbranch_vccz .LBB4_705
; %bb.704:                              ;   in Loop: Header=BB4_703 Depth=3
	s_mov_b32 s78, -1
	s_or_b32 s22, s22, exec_lo
	s_and_saveexec_b32 s77, s76
	s_cbranch_execz .LBB4_702
	s_branch .LBB4_706
	.p2align	6
.LBB4_705:                              ;   in Loop: Header=BB4_703 Depth=3
	s_trap 2
	ds_read_b64 v[8:9], v0
	s_andn2_b32 s76, s76, exec_lo
	s_mov_b32 s24, 0
	s_waitcnt lgkmcnt(0)
	s_waitcnt_vscnt null, 0x0
	flat_load_dword v2, v[8:9] glc dlc
	s_waitcnt vmcnt(0) lgkmcnt(0)
	buffer_gl1_inv
	buffer_gl0_inv
	v_cmp_eq_u32_e32 vcc_lo, 0, v2
	s_and_b32 s77, vcc_lo, exec_lo
	s_or_b32 s76, s76, s77
	s_mov_b32 s78, -1
	s_or_b32 s22, s22, exec_lo
	s_and_saveexec_b32 s77, s76
	s_cbranch_execz .LBB4_702
.LBB4_706:                              ;   in Loop: Header=BB4_703 Depth=3
	s_sleep 1
	s_trap 2
	ds_read_b64 v[8:9], v0
	s_waitcnt lgkmcnt(0)
	buffer_gl0_inv
	s_andn2_b32 s22, s22, exec_lo
	v_cmp_ge_u64_e32 vcc_lo, v[8:9], v[12:13]
	s_orn2_b32 s78, vcc_lo, exec_lo
	s_branch .LBB4_702
.LBB4_707:                              ;   in Loop: Header=BB4_497 Depth=2
	s_inst_prefetch 0x2
	s_or_b32 exec_lo, exec_lo, s20
	s_and_saveexec_b32 s20, s21
	s_xor_b32 s20, exec_lo, s20
	s_cbranch_execz .LBB4_709
; %bb.708:                              ;   in Loop: Header=BB4_497 Depth=2
	ds_write_b32 v0, v98
	s_trap 2
.LBB4_709:                              ;   in Loop: Header=BB4_497 Depth=2
	s_or_b32 exec_lo, exec_lo, s19
	;;#ASMSTART
	s_wakeup
	;;#ASMEND
.LBB4_710:                              ;   in Loop: Header=BB4_497 Depth=2
	s_or_b32 exec_lo, exec_lo, s18
.LBB4_711:                              ;   in Loop: Header=BB4_497 Depth=2
	s_andn2_saveexec_b32 s17, s17
	s_cbranch_execz .LBB4_713
; %bb.712:                              ;   in Loop: Header=BB4_497 Depth=2
	;;#ASMSTART
	s_waitcnt lgkmcnt(0) vmcnt(0)
	;;#ASMEND
	s_barrier
.LBB4_713:                              ;   in Loop: Header=BB4_497 Depth=2
	s_or_b32 exec_lo, exec_lo, s17
	v_and_b32_e32 v2, 16, v85
.LBB4_714:                              ;   in Loop: Header=BB4_497 Depth=2
	s_or_b32 exec_lo, exec_lo, s16
	v_cmp_ne_u32_e32 vcc_lo, 0, v2
	s_xor_b32 s16, s7, -1
	s_and_b32 s17, vcc_lo, s16
	s_and_saveexec_b32 s16, s17
	s_cbranch_execz .LBB4_716
; %bb.715:                              ;   in Loop: Header=BB4_497 Depth=2
	s_waitcnt vmcnt(0) lgkmcnt(0)
	s_waitcnt_vscnt null, 0x0
	flat_store_dword v[24:25], v98
.LBB4_716:                              ;   in Loop: Header=BB4_497 Depth=2
	s_or_b32 exec_lo, exec_lo, s16
	v_and_b32_e32 v2, 48, v85
	s_mov_b32 s16, exec_lo
	v_cmpx_ne_u32_e32 0, v2
	s_cbranch_execz .LBB4_496
; %bb.717:                              ;   in Loop: Header=BB4_497 Depth=2
	v_add_co_u32 v36, vcc_lo, v36, 2
	v_add_co_ci_u32_e64 v37, null, 0, v37, vcc_lo
	s_waitcnt vmcnt(0) lgkmcnt(0)
	s_waitcnt_vscnt null, 0x0
	flat_store_dwordx2 v[20:21], v[36:37]
	s_branch .LBB4_496
.LBB4_718:                              ;   in Loop: Header=BB4_47 Depth=1
	s_or_b32 exec_lo, exec_lo, s73
.LBB4_719:                              ;   in Loop: Header=BB4_47 Depth=1
	s_or_b32 exec_lo, exec_lo, s27
	s_mov_b32 s17, exec_lo
	v_cmpx_gt_i32_e32 2, v2
	s_cbranch_execz .LBB4_795
; %bb.720:                              ;   in Loop: Header=BB4_47 Depth=1
	v_cmp_eq_u32_e64 s19, 0, v2
	s_mov_b32 s18, 0
	s_branch .LBB4_722
.LBB4_721:                              ;   in Loop: Header=BB4_722 Depth=2
	s_or_b32 exec_lo, exec_lo, s16
	v_add_nc_u32_e32 v52, v50, v52
	s_mov_b32 s19, 0
	s_andn2_b32 exec_lo, exec_lo, s18
	s_cbranch_execz .LBB4_794
.LBB4_722:                              ;   Parent Loop BB4_47 Depth=1
                                        ; =>  This Loop Header: Depth=2
                                        ;       Child Loop BB4_728 Depth 3
                                        ;       Child Loop BB4_756 Depth 3
	;; [unrolled: 1-line block ×3, first 2 shown]
	v_sub_nc_u32_e32 v2, v43, v52
	v_and_b32_e32 v8, 12, v85
	s_mov_b32 s20, exec_lo
	v_min_i32_e32 v50, v50, v2
	v_cmpx_ne_u32_e32 0, v8
	s_cbranch_execz .LBB4_748
; %bb.723:                              ;   in Loop: Header=BB4_722 Depth=2
	v_and_b32_e32 v2, 8, v85
	s_mov_b32 s21, exec_lo
	s_waitcnt vmcnt(0) lgkmcnt(1)
	v_add_co_u32 v10, vcc_lo, v26, v2
	v_add_co_ci_u32_e64 v11, null, 0, v27, vcc_lo
	v_add_co_u32 v8, vcc_lo, v36, 2
	v_add_co_ci_u32_e64 v9, null, 0, v37, vcc_lo
	v_cmpx_lt_u64_e64 v[10:11], v[8:9]
	s_cbranch_execz .LBB4_735
; %bb.724:                              ;   in Loop: Header=BB4_722 Depth=2
	v_and_b32_e32 v10, 64, v85
	s_mov_b32 s22, 0
	s_mov_b32 s74, 0
                                        ; implicit-def: $sgpr24
                                        ; implicit-def: $sgpr27
                                        ; implicit-def: $sgpr73
	v_cmp_eq_u32_e32 vcc_lo, 0, v10
	s_branch .LBB4_728
.LBB4_725:                              ;   in Loop: Header=BB4_728 Depth=3
	s_waitcnt vmcnt(0) lgkmcnt(0)
	v_add_co_u32 v53, s16, v26, v2
	v_add_co_ci_u32_e64 v54, null, 0, v27, s16
	s_or_b32 s77, s77, exec_lo
	v_cmp_ge_u64_e64 s16, v[53:54], v[8:9]
	s_orn2_b32 s76, s16, exec_lo
.LBB4_726:                              ;   in Loop: Header=BB4_728 Depth=3
	s_or_b32 exec_lo, exec_lo, s79
	s_andn2_b32 s16, s73, exec_lo
	s_and_b32 s73, s77, exec_lo
	s_andn2_b32 s27, s27, exec_lo
	s_and_b32 s76, s76, exec_lo
	s_or_b32 s73, s16, s73
	s_or_b32 s27, s27, s76
.LBB4_727:                              ;   in Loop: Header=BB4_728 Depth=3
	s_or_b32 exec_lo, exec_lo, s75
	s_and_b32 s16, exec_lo, s27
	s_or_b32 s22, s16, s22
	s_andn2_b32 s16, s24, exec_lo
	s_and_b32 s24, s73, exec_lo
	s_or_b32 s24, s16, s24
	s_andn2_b32 exec_lo, exec_lo, s22
	s_cbranch_execz .LBB4_732
.LBB4_728:                              ;   Parent Loop BB4_47 Depth=1
                                        ;     Parent Loop BB4_722 Depth=2
                                        ; =>    This Inner Loop Header: Depth=3
	s_sleep 1
	s_waitcnt vmcnt(0) lgkmcnt(0)
	flat_load_dwordx2 v[26:27], v[20:21] glc dlc
	s_or_b32 s73, s73, exec_lo
	s_or_b32 s27, s27, exec_lo
                                        ; implicit-def: $vgpr10
	s_and_saveexec_b32 s75, vcc_lo
	s_cbranch_execz .LBB4_727
; %bb.729:                              ;   in Loop: Header=BB4_728 Depth=3
	s_cmpk_lt_i32 s74, 0x270f
	s_mov_b32 s76, -1
	s_cselect_b32 s78, -1, 0
	s_cmpk_gt_i32 s74, 0x270e
	s_cbranch_scc0 .LBB4_731
; %bb.730:                              ;   in Loop: Header=BB4_728 Depth=3
	s_trap 2
	ds_read_b64 v[10:11], v0
	s_andn2_b32 s74, s78, exec_lo
	s_mov_b32 s77, 0
	s_waitcnt vmcnt(0) lgkmcnt(0)
	s_waitcnt_vscnt null, 0x0
	flat_load_dword v10, v[10:11] glc dlc
	s_waitcnt vmcnt(0) lgkmcnt(0)
	buffer_gl1_inv
	buffer_gl0_inv
	v_cmp_eq_u32_e64 s16, 0, v10
	s_and_b32 s16, s16, exec_lo
	s_or_b32 s78, s74, s16
	s_mov_b32 s74, 0
	s_and_saveexec_b32 s79, s78
	s_cbranch_execz .LBB4_726
	s_branch .LBB4_725
.LBB4_731:                              ;   in Loop: Header=BB4_728 Depth=3
	s_add_i32 s74, s74, 1
	s_mov_b32 s77, -1
                                        ; implicit-def: $vgpr10
	s_and_saveexec_b32 s79, s78
	s_cbranch_execz .LBB4_726
	s_branch .LBB4_725
.LBB4_732:                              ;   in Loop: Header=BB4_722 Depth=2
	s_or_b32 exec_lo, exec_lo, s22
	s_xor_b32 s16, s24, -1
	s_and_saveexec_b32 s22, s16
	s_xor_b32 s16, exec_lo, s22
	s_cbranch_execz .LBB4_734
; %bb.733:                              ;   in Loop: Header=BB4_722 Depth=2
	v_or_b32_e32 v85, 64, v85
	s_waitcnt vmcnt(0) lgkmcnt(0)
	s_waitcnt_vscnt null, 0x0
	ds_write_b32 v0, v10
	s_trap 2
.LBB4_734:                              ;   in Loop: Header=BB4_722 Depth=2
	s_or_b32 exec_lo, exec_lo, s16
.LBB4_735:                              ;   in Loop: Header=BB4_722 Depth=2
	s_or_b32 exec_lo, exec_lo, s21
	v_and_b32_e32 v10, 0x108, v85
	s_mov_b32 s16, exec_lo
	;;#ASMSTART
	s_wakeup
	;;#ASMEND
	v_cmpx_ne_u32_e32 0x108, v10
	s_xor_b32 s16, exec_lo, s16
                                        ; implicit-def: $vgpr53
; %bb.736:                              ;   in Loop: Header=BB4_722 Depth=2
	v_and_b32_e32 v53, 7, v36
                                        ; implicit-def: $vgpr36_vgpr37
; %bb.737:                              ;   in Loop: Header=BB4_722 Depth=2
	s_andn2_saveexec_b32 s16, s16
	s_cbranch_execz .LBB4_739
; %bb.738:                              ;   in Loop: Header=BB4_722 Depth=2
	v_and_b32_e32 v53, 7, v36
	v_ashrrev_i32_e32 v51, 31, v50
	v_mad_u64_u32 v[10:11], null, v53, 24, v[6:7]
	v_lshlrev_b64 v[36:37], 3, v[50:51]
	flat_store_dwordx2 v[10:11], v[36:37] offset:8
.LBB4_739:                              ;   in Loop: Header=BB4_722 Depth=2
	s_or_b32 exec_lo, exec_lo, s16
	v_and_b32_e32 v10, 0x100, v85
	s_mov_b32 s16, -1
	v_cmp_ne_u32_e32 vcc_lo, 0, v10
                                        ; implicit-def: $vgpr10_vgpr11
	s_and_saveexec_b32 s21, vcc_lo
	s_cbranch_execz .LBB4_743
; %bb.740:                              ;   in Loop: Header=BB4_722 Depth=2
	v_mad_u64_u32 v[36:37], null, v53, 24, v[6:7]
	v_mov_b32_e32 v10, v37
	v_mad_u64_u32 v[10:11], null, v3, 24, v[10:11]
	v_mov_b32_e32 v37, v10
	flat_load_dword v10, v[36:37]
	s_waitcnt vmcnt(0) lgkmcnt(0)
	v_cmp_eq_u32_e64 s16, 1, v10
	v_cmp_ne_u32_e32 vcc_lo, 1, v10
                                        ; implicit-def: $vgpr10_vgpr11
	s_and_saveexec_b32 s22, s16
	s_cbranch_execz .LBB4_742
; %bb.741:                              ;   in Loop: Header=BB4_722 Depth=2
	flat_load_dword v10, v[36:37] offset:4 glc dlc
	s_waitcnt vmcnt(0) lgkmcnt(0)
	v_ashrrev_i32_e32 v11, 31, v10
	v_lshrrev_b64 v[10:11], 3, v[10:11]
.LBB4_742:                              ;   in Loop: Header=BB4_722 Depth=2
	s_or_b32 exec_lo, exec_lo, s22
	s_orn2_b32 s16, vcc_lo, exec_lo
.LBB4_743:                              ;   in Loop: Header=BB4_722 Depth=2
	s_or_b32 exec_lo, exec_lo, s21
	s_and_saveexec_b32 s21, s16
; %bb.744:                              ;   in Loop: Header=BB4_722 Depth=2
	v_mul_lo_u32 v36, v3, v86
	v_mul_lo_u32 v37, v53, v30
	v_mad_u64_u32 v[10:11], null, v53, v86, 0
	v_add3_u32 v11, v11, v37, v36
; %bb.745:                              ;   in Loop: Header=BB4_722 Depth=2
	s_or_b32 exec_lo, exec_lo, s21
	v_cmp_eq_u32_e32 vcc_lo, 0, v2
	v_lshlrev_b64 v[10:11], 3, v[10:11]
	v_and_b32_e32 v36, 0x2000, v85
	s_mov_b32 s16, exec_lo
	v_cndmask_b32_e32 v2, 0xd0, v99, vcc_lo
	v_add_co_u32 v10, vcc_lo, v22, v10
	v_add_co_ci_u32_e64 v11, null, v23, v11, vcc_lo
	v_add_nc_u32_e32 v2, v0, v2
	ds_write_b64 v2, v[10:11] offset:584
	v_cmpx_ne_u32_e32 0, v36
	s_cbranch_execz .LBB4_747
; %bb.746:                              ;   in Loop: Header=BB4_722 Depth=2
	ds_read_b64 v[10:11], v0 offset:872
	s_waitcnt lgkmcnt(0)
	v_add_co_u32 v10, vcc_lo, v10, 1
	v_add_co_ci_u32_e64 v11, null, 0, v11, vcc_lo
	ds_write_b64 v0, v[10:11] offset:872
.LBB4_747:                              ;   in Loop: Header=BB4_722 Depth=2
	s_or_b32 exec_lo, exec_lo, s16
	v_mov_b32_e32 v37, v9
	v_mov_b32_e32 v36, v8
.LBB4_748:                              ;   in Loop: Header=BB4_722 Depth=2
	s_or_b32 exec_lo, exec_lo, s20
	s_xor_b32 s16, s19, -1
	s_and_b32 s16, exec_lo, s16
	s_or_b32 s18, s16, s18
	s_and_saveexec_b32 s16, s6
	s_cbranch_execz .LBB4_767
; %bb.749:                              ;   in Loop: Header=BB4_722 Depth=2
	s_and_saveexec_b32 s19, s42
	s_xor_b32 s19, exec_lo, s19
	s_cbranch_execz .LBB4_764
; %bb.750:                              ;   in Loop: Header=BB4_722 Depth=2
	s_and_saveexec_b32 s20, s11
	s_cbranch_execz .LBB4_763
; %bb.751:                              ;   in Loop: Header=BB4_722 Depth=2
	s_mov_b32 s22, exec_lo
	s_mov_b32 s21, exec_lo
	v_mbcnt_lo_u32_b32 v2, s22, 0
	s_waitcnt vmcnt(0) lgkmcnt(0)
	s_waitcnt_vscnt null, 0x0
	buffer_gl1_inv
	buffer_gl0_inv
	v_cmpx_eq_u32_e32 0, v2
	s_cbranch_execz .LBB4_753
; %bb.752:                              ;   in Loop: Header=BB4_722 Depth=2
	s_bcnt1_i32_b32 s22, s22
	v_mov_b32_e32 v2, s22
	ds_add_u64 v0, v[2:3]
	s_trap 2
.LBB4_753:                              ;   in Loop: Header=BB4_722 Depth=2
	s_or_b32 exec_lo, exec_lo, s21
	s_trap 2
	ds_read_b64 v[8:9], v0
	s_waitcnt lgkmcnt(0)
	buffer_gl0_inv
	v_add_co_u32 v12, vcc_lo, v12, v87
	v_add_co_ci_u32_e64 v13, null, 0, v13, vcc_lo
	s_mov_b32 s21, exec_lo
	v_cmpx_lt_u64_e64 v[8:9], v[12:13]
	s_cbranch_execz .LBB4_762
; %bb.754:                              ;   in Loop: Header=BB4_722 Depth=2
	s_mov_b32 s22, 0
	s_mov_b32 s73, 0
                                        ; implicit-def: $sgpr24
                                        ; implicit-def: $sgpr27
	s_inst_prefetch 0x1
	s_branch .LBB4_756
	.p2align	6
.LBB4_755:                              ;   in Loop: Header=BB4_756 Depth=3
	s_or_b32 exec_lo, exec_lo, s75
	s_and_b32 s74, exec_lo, s76
	s_or_b32 s22, s74, s22
	s_andn2_b32 s24, s24, exec_lo
	s_and_b32 s74, s27, exec_lo
	s_or_b32 s24, s24, s74
	s_andn2_b32 exec_lo, exec_lo, s22
	s_cbranch_execz .LBB4_760
.LBB4_756:                              ;   Parent Loop BB4_47 Depth=1
                                        ;     Parent Loop BB4_722 Depth=2
                                        ; =>    This Inner Loop Header: Depth=3
	s_add_i32 s73, s73, 1
	s_cmpk_lg_i32 s73, 0x2710
	s_cselect_b32 s74, -1, 0
	s_and_b32 vcc_lo, exec_lo, s74
	s_cbranch_vccz .LBB4_758
; %bb.757:                              ;   in Loop: Header=BB4_756 Depth=3
	s_mov_b32 s76, -1
	s_or_b32 s27, s27, exec_lo
	s_and_saveexec_b32 s75, s74
	s_cbranch_execz .LBB4_755
	s_branch .LBB4_759
	.p2align	6
.LBB4_758:                              ;   in Loop: Header=BB4_756 Depth=3
	s_trap 2
	ds_read_b64 v[8:9], v0
	s_andn2_b32 s74, s74, exec_lo
	s_mov_b32 s73, 0
	s_waitcnt lgkmcnt(0)
	flat_load_dword v2, v[8:9] glc dlc
	s_waitcnt vmcnt(0) lgkmcnt(0)
	buffer_gl1_inv
	buffer_gl0_inv
	v_cmp_eq_u32_e32 vcc_lo, 0, v2
	s_and_b32 s75, vcc_lo, exec_lo
	s_or_b32 s74, s74, s75
	s_mov_b32 s76, -1
	s_or_b32 s27, s27, exec_lo
	s_and_saveexec_b32 s75, s74
	s_cbranch_execz .LBB4_755
.LBB4_759:                              ;   in Loop: Header=BB4_756 Depth=3
	s_sleep 1
	s_trap 2
	ds_read_b64 v[8:9], v0
	s_waitcnt lgkmcnt(0)
	buffer_gl0_inv
	s_andn2_b32 s27, s27, exec_lo
	v_cmp_ge_u64_e32 vcc_lo, v[8:9], v[12:13]
	s_orn2_b32 s76, vcc_lo, exec_lo
	s_branch .LBB4_755
.LBB4_760:                              ;   in Loop: Header=BB4_722 Depth=2
	s_inst_prefetch 0x2
	s_or_b32 exec_lo, exec_lo, s22
	s_and_saveexec_b32 s22, s24
	s_xor_b32 s22, exec_lo, s22
	s_cbranch_execz .LBB4_762
; %bb.761:                              ;   in Loop: Header=BB4_722 Depth=2
	ds_write_b32 v0, v98
	s_trap 2
.LBB4_762:                              ;   in Loop: Header=BB4_722 Depth=2
	s_or_b32 exec_lo, exec_lo, s21
	;;#ASMSTART
	s_wakeup
	;;#ASMEND
.LBB4_763:                              ;   in Loop: Header=BB4_722 Depth=2
	s_or_b32 exec_lo, exec_lo, s20
.LBB4_764:                              ;   in Loop: Header=BB4_722 Depth=2
	s_andn2_saveexec_b32 s19, s19
	s_cbranch_execz .LBB4_766
; %bb.765:                              ;   in Loop: Header=BB4_722 Depth=2
	s_waitcnt vmcnt(0) lgkmcnt(0)
	s_waitcnt_vscnt null, 0x0
	buffer_gl1_inv
	buffer_gl0_inv
	s_barrier
.LBB4_766:                              ;   in Loop: Header=BB4_722 Depth=2
	s_or_b32 exec_lo, exec_lo, s19
.LBB4_767:                              ;   in Loop: Header=BB4_722 Depth=2
	s_or_b32 exec_lo, exec_lo, s16
                                        ; implicit-def: $vgpr2
	s_and_saveexec_b32 s16, s15
	s_xor_b32 s19, exec_lo, s16
	s_cbranch_execz .LBB4_771
; %bb.768:                              ;   in Loop: Header=BB4_722 Depth=2
	s_trap 2
	ds_read_b32 v2, v0
	v_cmp_lt_i32_e32 vcc_lo, 0, v50
	s_waitcnt lgkmcnt(0)
	v_readfirstlane_b32 s16, v2
	v_and_b32_e32 v2, 16, v85
	s_cmp_eq_u32 s16, 0
	v_cmp_ne_u32_e64 s16, 0, v2
	s_cselect_b32 s20, -1, 0
	v_and_b32_e32 v2, 16, v85
	s_and_b32 s20, vcc_lo, s20
	s_and_b32 s20, s16, s20
	s_and_saveexec_b32 s16, s20
	s_cbranch_execz .LBB4_770
; %bb.769:                              ;   in Loop: Header=BB4_722 Depth=2
	v_mov_b32_e32 v2, 1
	s_waitcnt vmcnt(0)
	s_waitcnt_vscnt null, 0x0
	buffer_gl1_inv
	buffer_gl0_inv
.LBB4_770:                              ;   in Loop: Header=BB4_722 Depth=2
	s_or_b32 exec_lo, exec_lo, s16
	s_andn2_saveexec_b32 s16, s19
	s_cbranch_execz .LBB4_790
	s_branch .LBB4_772
.LBB4_771:                              ;   in Loop: Header=BB4_722 Depth=2
	s_andn2_saveexec_b32 s16, s19
	s_cbranch_execz .LBB4_790
.LBB4_772:                              ;   in Loop: Header=BB4_722 Depth=2
	s_and_saveexec_b32 s19, s42
	s_xor_b32 s19, exec_lo, s19
	s_cbranch_execz .LBB4_787
; %bb.773:                              ;   in Loop: Header=BB4_722 Depth=2
	s_and_saveexec_b32 s20, s11
	s_cbranch_execz .LBB4_786
; %bb.774:                              ;   in Loop: Header=BB4_722 Depth=2
	s_mov_b32 s22, exec_lo
	s_mov_b32 s21, exec_lo
	v_mbcnt_lo_u32_b32 v2, s22, 0
	;;#ASMSTART
	s_waitcnt lgkmcnt(0) vmcnt(0)
	;;#ASMEND
	v_cmpx_eq_u32_e32 0, v2
	s_cbranch_execz .LBB4_776
; %bb.775:                              ;   in Loop: Header=BB4_722 Depth=2
	s_bcnt1_i32_b32 s22, s22
	v_mov_b32_e32 v2, s22
	s_waitcnt vmcnt(0) lgkmcnt(0)
	s_waitcnt_vscnt null, 0x0
	ds_add_u64 v0, v[2:3]
	s_trap 2
.LBB4_776:                              ;   in Loop: Header=BB4_722 Depth=2
	s_or_b32 exec_lo, exec_lo, s21
	s_trap 2
	ds_read_b64 v[8:9], v0
	s_waitcnt vmcnt(0) lgkmcnt(0)
	buffer_gl0_inv
	v_add_co_u32 v12, vcc_lo, v12, v87
	v_add_co_ci_u32_e64 v13, null, 0, v13, vcc_lo
	s_mov_b32 s21, exec_lo
	v_cmpx_lt_u64_e64 v[8:9], v[12:13]
	s_cbranch_execz .LBB4_785
; %bb.777:                              ;   in Loop: Header=BB4_722 Depth=2
	s_mov_b32 s22, 0
	s_mov_b32 s73, 0
                                        ; implicit-def: $sgpr24
                                        ; implicit-def: $sgpr27
	s_inst_prefetch 0x1
	s_branch .LBB4_779
	.p2align	6
.LBB4_778:                              ;   in Loop: Header=BB4_779 Depth=3
	s_or_b32 exec_lo, exec_lo, s75
	s_and_b32 s74, exec_lo, s76
	s_or_b32 s22, s74, s22
	s_andn2_b32 s24, s24, exec_lo
	s_and_b32 s74, s27, exec_lo
	s_or_b32 s24, s24, s74
	s_andn2_b32 exec_lo, exec_lo, s22
	s_cbranch_execz .LBB4_783
.LBB4_779:                              ;   Parent Loop BB4_47 Depth=1
                                        ;     Parent Loop BB4_722 Depth=2
                                        ; =>    This Inner Loop Header: Depth=3
	s_add_i32 s73, s73, 1
	s_cmpk_lg_i32 s73, 0x2710
	s_cselect_b32 s74, -1, 0
	s_and_b32 vcc_lo, exec_lo, s74
	s_cbranch_vccz .LBB4_781
; %bb.780:                              ;   in Loop: Header=BB4_779 Depth=3
	s_mov_b32 s76, -1
	s_or_b32 s27, s27, exec_lo
	s_and_saveexec_b32 s75, s74
	s_cbranch_execz .LBB4_778
	s_branch .LBB4_782
	.p2align	6
.LBB4_781:                              ;   in Loop: Header=BB4_779 Depth=3
	s_trap 2
	ds_read_b64 v[8:9], v0
	s_andn2_b32 s74, s74, exec_lo
	s_mov_b32 s73, 0
	s_waitcnt lgkmcnt(0)
	s_waitcnt_vscnt null, 0x0
	flat_load_dword v2, v[8:9] glc dlc
	s_waitcnt vmcnt(0) lgkmcnt(0)
	buffer_gl1_inv
	buffer_gl0_inv
	v_cmp_eq_u32_e32 vcc_lo, 0, v2
	s_and_b32 s75, vcc_lo, exec_lo
	s_or_b32 s74, s74, s75
	s_mov_b32 s76, -1
	s_or_b32 s27, s27, exec_lo
	s_and_saveexec_b32 s75, s74
	s_cbranch_execz .LBB4_778
.LBB4_782:                              ;   in Loop: Header=BB4_779 Depth=3
	s_sleep 1
	s_trap 2
	ds_read_b64 v[8:9], v0
	s_waitcnt lgkmcnt(0)
	buffer_gl0_inv
	s_andn2_b32 s27, s27, exec_lo
	v_cmp_ge_u64_e32 vcc_lo, v[8:9], v[12:13]
	s_orn2_b32 s76, vcc_lo, exec_lo
	s_branch .LBB4_778
.LBB4_783:                              ;   in Loop: Header=BB4_722 Depth=2
	s_inst_prefetch 0x2
	s_or_b32 exec_lo, exec_lo, s22
	s_and_saveexec_b32 s22, s24
	s_xor_b32 s22, exec_lo, s22
	s_cbranch_execz .LBB4_785
; %bb.784:                              ;   in Loop: Header=BB4_722 Depth=2
	ds_write_b32 v0, v98
	s_trap 2
.LBB4_785:                              ;   in Loop: Header=BB4_722 Depth=2
	s_or_b32 exec_lo, exec_lo, s21
	;;#ASMSTART
	s_wakeup
	;;#ASMEND
.LBB4_786:                              ;   in Loop: Header=BB4_722 Depth=2
	s_or_b32 exec_lo, exec_lo, s20
.LBB4_787:                              ;   in Loop: Header=BB4_722 Depth=2
	s_andn2_saveexec_b32 s19, s19
	s_cbranch_execz .LBB4_789
; %bb.788:                              ;   in Loop: Header=BB4_722 Depth=2
	;;#ASMSTART
	s_waitcnt lgkmcnt(0) vmcnt(0)
	;;#ASMEND
	s_barrier
.LBB4_789:                              ;   in Loop: Header=BB4_722 Depth=2
	s_or_b32 exec_lo, exec_lo, s19
	v_and_b32_e32 v2, 16, v85
.LBB4_790:                              ;   in Loop: Header=BB4_722 Depth=2
	s_or_b32 exec_lo, exec_lo, s16
	v_cmp_ne_u32_e32 vcc_lo, 0, v2
	s_xor_b32 s16, s7, -1
	s_and_b32 s19, vcc_lo, s16
	s_and_saveexec_b32 s16, s19
	s_cbranch_execz .LBB4_792
; %bb.791:                              ;   in Loop: Header=BB4_722 Depth=2
	s_waitcnt vmcnt(0) lgkmcnt(0)
	s_waitcnt_vscnt null, 0x0
	flat_store_dword v[24:25], v98
.LBB4_792:                              ;   in Loop: Header=BB4_722 Depth=2
	s_or_b32 exec_lo, exec_lo, s16
	v_and_b32_e32 v2, 48, v85
	s_mov_b32 s16, exec_lo
	v_cmpx_ne_u32_e32 0, v2
	s_cbranch_execz .LBB4_721
; %bb.793:                              ;   in Loop: Header=BB4_722 Depth=2
	v_add_co_u32 v36, vcc_lo, v36, 2
	v_add_co_ci_u32_e64 v37, null, 0, v37, vcc_lo
	s_waitcnt vmcnt(0) lgkmcnt(0)
	s_waitcnt_vscnt null, 0x0
	flat_store_dwordx2 v[20:21], v[36:37]
	s_branch .LBB4_721
.LBB4_794:                              ;   in Loop: Header=BB4_47 Depth=1
	s_or_b32 exec_lo, exec_lo, s18
.LBB4_795:                              ;   in Loop: Header=BB4_47 Depth=1
	s_or_b32 exec_lo, exec_lo, s17
	s_andn2_b32 vcc_lo, exec_lo, s57
	s_cbranch_vccnz .LBB4_1052
; %bb.796:                              ;   in Loop: Header=BB4_47 Depth=1
	s_mov_b32 s22, 1
.LBB4_797:                              ;   Parent Loop BB4_47 Depth=1
                                        ; =>  This Loop Header: Depth=2
                                        ;       Child Loop BB4_800 Depth 3
                                        ;         Child Loop BB4_808 Depth 4
                                        ;         Child Loop BB4_836 Depth 4
	;; [unrolled: 1-line block ×5, first 2 shown]
                                        ;           Child Loop BB4_888 Depth 5
                                        ;         Child Loop BB4_895 Depth 4
                                        ;         Child Loop BB4_900 Depth 4
                                        ;           Child Loop BB4_901 Depth 5
                                        ;         Child Loop BB4_913 Depth 4
                                        ;         Child Loop BB4_918 Depth 4
	;; [unrolled: 1-line block ×6, first 2 shown]
                                        ;       Child Loop BB4_977 Depth 3
                                        ;         Child Loop BB4_983 Depth 4
                                        ;         Child Loop BB4_1011 Depth 4
                                        ;         Child Loop BB4_1034 Depth 4
	s_sub_i32 s16, s45, s22
	v_mov_b32_e32 v52, 0
	s_cmp_ge_i32 s16, s29
	s_mov_b32 s27, 0
	s_cselect_b32 s17, s29, 0
	s_sub_i32 s16, s16, s17
	s_ashr_i32 s17, s16, 31
	v_mul_lo_u32 v2, v35, s16
	v_mad_u64_u32 v[8:9], null, v34, s16, 0
	v_mul_lo_u32 v10, v34, s17
	v_add3_u32 v9, v9, v10, v2
	v_sub_co_u32 v10, vcc_lo, v38, v8
	v_sub_co_ci_u32_e64 v11, null, v39, v9, vcc_lo
	v_cmp_lt_i64_e32 vcc_lo, v[34:35], v[10:11]
	v_cndmask_b32_e32 v10, v10, v34, vcc_lo
	v_max_i32_e32 v80, 0, v10
	v_cmp_lt_i32_e32 vcc_lo, 0, v10
	v_add_nc_u32_e32 v2, 31, v80
	s_and_b32 s16, s60, vcc_lo
	v_lshrrev_b32_e32 v2, 1, v2
	v_and_b32_e32 v11, 0x3ffffff0, v2
	v_mov_b32_e32 v2, 0
	v_max_i32_e32 v50, s56, v11
	s_and_saveexec_b32 s24, s16
	s_cbranch_execz .LBB4_974
; %bb.798:                              ;   in Loop: Header=BB4_797 Depth=2
	v_add_co_u32 v8, vcc_lo, v8, v48
	v_add_co_ci_u32_e64 v9, null, v9, v49, vcc_lo
	v_mov_b32_e32 v52, 0
	s_mov_b32 s74, 1
	s_mov_b32 s73, -1
	v_lshlrev_b64 v[54:55], 3, v[8:9]
	s_branch .LBB4_800
.LBB4_799:                              ;   in Loop: Header=BB4_800 Depth=3
	s_or_b32 exec_lo, exec_lo, s16
	v_add_nc_u32_e32 v52, v50, v52
	s_xor_b32 s16, s73, -1
	v_mov_b32_e32 v2, s74
	s_mov_b32 s73, 0
	s_mov_b32 s74, 2
	v_cmp_ge_i32_e32 vcc_lo, v52, v80
	s_or_b32 s16, s16, vcc_lo
	s_and_b32 s16, exec_lo, s16
	s_or_b32 s27, s16, s27
	s_andn2_b32 exec_lo, exec_lo, s27
	s_cbranch_execz .LBB4_973
.LBB4_800:                              ;   Parent Loop BB4_47 Depth=1
                                        ;     Parent Loop BB4_797 Depth=2
                                        ; =>    This Loop Header: Depth=3
                                        ;         Child Loop BB4_808 Depth 4
                                        ;         Child Loop BB4_836 Depth 4
	;; [unrolled: 1-line block ×5, first 2 shown]
                                        ;           Child Loop BB4_888 Depth 5
                                        ;         Child Loop BB4_895 Depth 4
                                        ;         Child Loop BB4_900 Depth 4
                                        ;           Child Loop BB4_901 Depth 5
                                        ;         Child Loop BB4_913 Depth 4
                                        ;         Child Loop BB4_918 Depth 4
	;; [unrolled: 1-line block ×6, first 2 shown]
	s_and_saveexec_b32 s17, s4
	s_cbranch_execz .LBB4_802
; %bb.801:                              ;   in Loop: Header=BB4_800 Depth=3
	s_trap 2
	ds_read_b128 v[8:11], v0
	v_ashrrev_i32_e32 v53, 31, v52
	v_lshlrev_b64 v[64:65], 3, v[52:53]
	s_waitcnt lgkmcnt(0)
	v_add_co_u32 v2, vcc_lo, v10, v54
	v_add_co_ci_u32_e64 v51, null, v11, v55, vcc_lo
	v_add_co_u32 v8, vcc_lo, v8, v54
	v_add_co_ci_u32_e64 v9, null, v9, v55, vcc_lo
	;; [unrolled: 2-line block ×3, first 2 shown]
	v_cmp_ne_u64_e32 vcc_lo, 0, v[10:11]
	v_add_co_u32 v8, s16, v8, v64
	v_add_co_ci_u32_e64 v9, null, v9, v65, s16
	v_cndmask_b32_e32 v11, 0, v51, vcc_lo
	v_cndmask_b32_e32 v10, 0, v2, vcc_lo
	ds_write_b64 v0, v[8:9]
	ds_write_b64 v0, v[10:11]
.LBB4_802:                              ;   in Loop: Header=BB4_800 Depth=3
	s_or_b32 exec_lo, exec_lo, s17
	v_sub_nc_u32_e32 v2, v80, v52
	v_and_b32_e32 v8, 12, v85
	s_mov_b32 s17, exec_lo
	v_min_i32_e32 v50, v50, v2
	v_cmpx_ne_u32_e32 0, v8
	s_cbranch_execz .LBB4_828
; %bb.803:                              ;   in Loop: Header=BB4_800 Depth=3
	v_and_b32_e32 v2, 8, v85
	s_mov_b32 s18, exec_lo
	s_waitcnt vmcnt(0) lgkmcnt(1)
	v_add_co_u32 v10, vcc_lo, v26, v2
	v_add_co_ci_u32_e64 v11, null, 0, v27, vcc_lo
	v_add_co_u32 v8, vcc_lo, v36, 2
	v_add_co_ci_u32_e64 v9, null, 0, v37, vcc_lo
	v_cmpx_lt_u64_e64 v[10:11], v[8:9]
	s_cbranch_execz .LBB4_815
; %bb.804:                              ;   in Loop: Header=BB4_800 Depth=3
	v_and_b32_e32 v10, 64, v85
	s_mov_b32 s19, 0
	s_mov_b32 s76, 0
                                        ; implicit-def: $sgpr20
                                        ; implicit-def: $sgpr21
                                        ; implicit-def: $sgpr75
	v_cmp_eq_u32_e32 vcc_lo, 0, v10
	s_branch .LBB4_808
.LBB4_805:                              ;   in Loop: Header=BB4_808 Depth=4
	s_waitcnt vmcnt(0) lgkmcnt(0)
	v_add_co_u32 v64, s16, v26, v2
	v_add_co_ci_u32_e64 v65, null, 0, v27, s16
	s_or_b32 s79, s79, exec_lo
	v_cmp_ge_u64_e64 s16, v[64:65], v[8:9]
	s_orn2_b32 s78, s16, exec_lo
.LBB4_806:                              ;   in Loop: Header=BB4_808 Depth=4
	s_or_b32 exec_lo, exec_lo, s89
	s_andn2_b32 s16, s75, exec_lo
	s_and_b32 s75, s79, exec_lo
	s_andn2_b32 s21, s21, exec_lo
	s_and_b32 s78, s78, exec_lo
	s_or_b32 s75, s16, s75
	s_or_b32 s21, s21, s78
.LBB4_807:                              ;   in Loop: Header=BB4_808 Depth=4
	s_or_b32 exec_lo, exec_lo, s77
	s_and_b32 s16, exec_lo, s21
	s_or_b32 s19, s16, s19
	s_andn2_b32 s16, s20, exec_lo
	s_and_b32 s20, s75, exec_lo
	s_or_b32 s20, s16, s20
	s_andn2_b32 exec_lo, exec_lo, s19
	s_cbranch_execz .LBB4_812
.LBB4_808:                              ;   Parent Loop BB4_47 Depth=1
                                        ;     Parent Loop BB4_797 Depth=2
                                        ;       Parent Loop BB4_800 Depth=3
                                        ; =>      This Inner Loop Header: Depth=4
	s_sleep 1
	s_waitcnt vmcnt(0) lgkmcnt(0)
	flat_load_dwordx2 v[26:27], v[20:21] glc dlc
	s_or_b32 s75, s75, exec_lo
	s_or_b32 s21, s21, exec_lo
                                        ; implicit-def: $vgpr10
	s_and_saveexec_b32 s77, vcc_lo
	s_cbranch_execz .LBB4_807
; %bb.809:                              ;   in Loop: Header=BB4_808 Depth=4
	s_cmpk_lt_i32 s76, 0x270f
	s_mov_b32 s78, -1
	s_cselect_b32 s88, -1, 0
	s_cmpk_gt_i32 s76, 0x270e
	s_cbranch_scc0 .LBB4_811
; %bb.810:                              ;   in Loop: Header=BB4_808 Depth=4
	s_trap 2
	ds_read_b64 v[10:11], v0
	s_andn2_b32 s76, s88, exec_lo
	s_mov_b32 s79, 0
	s_waitcnt vmcnt(0) lgkmcnt(0)
	s_waitcnt_vscnt null, 0x0
	flat_load_dword v10, v[10:11] glc dlc
	s_waitcnt vmcnt(0) lgkmcnt(0)
	buffer_gl1_inv
	buffer_gl0_inv
	v_cmp_eq_u32_e64 s16, 0, v10
	s_and_b32 s16, s16, exec_lo
	s_or_b32 s88, s76, s16
	s_mov_b32 s76, 0
	s_and_saveexec_b32 s89, s88
	s_cbranch_execz .LBB4_806
	s_branch .LBB4_805
.LBB4_811:                              ;   in Loop: Header=BB4_808 Depth=4
	s_add_i32 s76, s76, 1
	s_mov_b32 s79, -1
                                        ; implicit-def: $vgpr10
	s_and_saveexec_b32 s89, s88
	s_cbranch_execz .LBB4_806
	s_branch .LBB4_805
.LBB4_812:                              ;   in Loop: Header=BB4_800 Depth=3
	s_or_b32 exec_lo, exec_lo, s19
	s_xor_b32 s16, s20, -1
	s_and_saveexec_b32 s19, s16
	s_xor_b32 s16, exec_lo, s19
	s_cbranch_execz .LBB4_814
; %bb.813:                              ;   in Loop: Header=BB4_800 Depth=3
	v_or_b32_e32 v85, 64, v85
	s_waitcnt vmcnt(0) lgkmcnt(0)
	s_waitcnt_vscnt null, 0x0
	ds_write_b32 v0, v10
	s_trap 2
.LBB4_814:                              ;   in Loop: Header=BB4_800 Depth=3
	s_or_b32 exec_lo, exec_lo, s16
.LBB4_815:                              ;   in Loop: Header=BB4_800 Depth=3
	s_or_b32 exec_lo, exec_lo, s18
	v_and_b32_e32 v10, 0x108, v85
	s_mov_b32 s16, exec_lo
	;;#ASMSTART
	s_wakeup
	;;#ASMEND
	v_cmpx_ne_u32_e32 0x108, v10
	s_xor_b32 s16, exec_lo, s16
                                        ; implicit-def: $vgpr53
; %bb.816:                              ;   in Loop: Header=BB4_800 Depth=3
	v_and_b32_e32 v53, 7, v36
                                        ; implicit-def: $vgpr36_vgpr37
; %bb.817:                              ;   in Loop: Header=BB4_800 Depth=3
	s_andn2_saveexec_b32 s16, s16
	s_cbranch_execz .LBB4_819
; %bb.818:                              ;   in Loop: Header=BB4_800 Depth=3
	v_and_b32_e32 v53, 7, v36
	v_ashrrev_i32_e32 v51, 31, v50
	v_mad_u64_u32 v[10:11], null, v53, 24, v[6:7]
	v_lshlrev_b64 v[36:37], 3, v[50:51]
	flat_store_dwordx2 v[10:11], v[36:37] offset:8
.LBB4_819:                              ;   in Loop: Header=BB4_800 Depth=3
	s_or_b32 exec_lo, exec_lo, s16
	v_and_b32_e32 v10, 0x100, v85
	s_mov_b32 s16, -1
	v_cmp_ne_u32_e32 vcc_lo, 0, v10
                                        ; implicit-def: $vgpr10_vgpr11
	s_and_saveexec_b32 s18, vcc_lo
	s_cbranch_execz .LBB4_823
; %bb.820:                              ;   in Loop: Header=BB4_800 Depth=3
	v_mad_u64_u32 v[36:37], null, v53, 24, v[6:7]
	v_mov_b32_e32 v10, v37
	v_mad_u64_u32 v[10:11], null, v3, 24, v[10:11]
	v_mov_b32_e32 v37, v10
	flat_load_dword v10, v[36:37]
	s_waitcnt vmcnt(0) lgkmcnt(0)
	v_cmp_eq_u32_e64 s16, 1, v10
	v_cmp_ne_u32_e32 vcc_lo, 1, v10
                                        ; implicit-def: $vgpr10_vgpr11
	s_and_saveexec_b32 s19, s16
	s_cbranch_execz .LBB4_822
; %bb.821:                              ;   in Loop: Header=BB4_800 Depth=3
	flat_load_dword v10, v[36:37] offset:4 glc dlc
	s_waitcnt vmcnt(0) lgkmcnt(0)
	v_ashrrev_i32_e32 v11, 31, v10
	v_lshrrev_b64 v[10:11], 3, v[10:11]
.LBB4_822:                              ;   in Loop: Header=BB4_800 Depth=3
	s_or_b32 exec_lo, exec_lo, s19
	s_orn2_b32 s16, vcc_lo, exec_lo
.LBB4_823:                              ;   in Loop: Header=BB4_800 Depth=3
	s_or_b32 exec_lo, exec_lo, s18
	s_and_saveexec_b32 s18, s16
; %bb.824:                              ;   in Loop: Header=BB4_800 Depth=3
	v_mul_lo_u32 v36, v3, v86
	v_mul_lo_u32 v37, v53, v30
	v_mad_u64_u32 v[10:11], null, v53, v86, 0
	v_add3_u32 v11, v11, v37, v36
; %bb.825:                              ;   in Loop: Header=BB4_800 Depth=3
	s_or_b32 exec_lo, exec_lo, s18
	v_cmp_eq_u32_e32 vcc_lo, 0, v2
	v_lshlrev_b64 v[10:11], 3, v[10:11]
	v_and_b32_e32 v36, 0x2000, v85
	s_mov_b32 s16, exec_lo
	v_cndmask_b32_e32 v2, 0xd0, v100, vcc_lo
	v_add_co_u32 v10, vcc_lo, v22, v10
	v_add_co_ci_u32_e64 v11, null, v23, v11, vcc_lo
	v_add_nc_u32_e32 v2, v0, v2
	ds_write_b64 v2, v[10:11] offset:584
	v_cmpx_ne_u32_e32 0, v36
	s_cbranch_execz .LBB4_827
; %bb.826:                              ;   in Loop: Header=BB4_800 Depth=3
	ds_read_b64 v[10:11], v0 offset:872
	s_waitcnt lgkmcnt(0)
	v_add_co_u32 v10, vcc_lo, v10, 1
	v_add_co_ci_u32_e64 v11, null, 0, v11, vcc_lo
	ds_write_b64 v0, v[10:11] offset:872
.LBB4_827:                              ;   in Loop: Header=BB4_800 Depth=3
	s_or_b32 exec_lo, exec_lo, s16
	v_mov_b32_e32 v37, v9
	v_mov_b32_e32 v36, v8
.LBB4_828:                              ;   in Loop: Header=BB4_800 Depth=3
	s_or_b32 exec_lo, exec_lo, s17
	s_and_saveexec_b32 s16, s6
	s_cbranch_execz .LBB4_847
; %bb.829:                              ;   in Loop: Header=BB4_800 Depth=3
	s_and_saveexec_b32 s17, s42
	s_xor_b32 s17, exec_lo, s17
	s_cbranch_execz .LBB4_844
; %bb.830:                              ;   in Loop: Header=BB4_800 Depth=3
	s_and_saveexec_b32 s18, s11
	s_cbranch_execz .LBB4_843
; %bb.831:                              ;   in Loop: Header=BB4_800 Depth=3
	s_mov_b32 s20, exec_lo
	s_mov_b32 s19, exec_lo
	v_mbcnt_lo_u32_b32 v2, s20, 0
	s_waitcnt vmcnt(0) lgkmcnt(0)
	s_waitcnt_vscnt null, 0x0
	buffer_gl1_inv
	buffer_gl0_inv
	v_cmpx_eq_u32_e32 0, v2
	s_cbranch_execz .LBB4_833
; %bb.832:                              ;   in Loop: Header=BB4_800 Depth=3
	s_bcnt1_i32_b32 s20, s20
	v_mov_b32_e32 v2, s20
	ds_add_u64 v0, v[2:3]
	s_trap 2
.LBB4_833:                              ;   in Loop: Header=BB4_800 Depth=3
	s_or_b32 exec_lo, exec_lo, s19
	s_trap 2
	ds_read_b64 v[8:9], v0
	s_waitcnt lgkmcnt(0)
	buffer_gl0_inv
	v_add_co_u32 v12, vcc_lo, v12, v87
	v_add_co_ci_u32_e64 v13, null, 0, v13, vcc_lo
	s_mov_b32 s19, exec_lo
	v_cmpx_lt_u64_e64 v[8:9], v[12:13]
	s_cbranch_execz .LBB4_842
; %bb.834:                              ;   in Loop: Header=BB4_800 Depth=3
	s_mov_b32 s20, 0
	s_mov_b32 s76, 0
                                        ; implicit-def: $sgpr21
                                        ; implicit-def: $sgpr75
	s_inst_prefetch 0x1
	s_branch .LBB4_836
	.p2align	6
.LBB4_835:                              ;   in Loop: Header=BB4_836 Depth=4
	s_or_b32 exec_lo, exec_lo, s78
	s_and_b32 s77, exec_lo, s79
	s_or_b32 s20, s77, s20
	s_andn2_b32 s21, s21, exec_lo
	s_and_b32 s77, s75, exec_lo
	s_or_b32 s21, s21, s77
	s_andn2_b32 exec_lo, exec_lo, s20
	s_cbranch_execz .LBB4_840
.LBB4_836:                              ;   Parent Loop BB4_47 Depth=1
                                        ;     Parent Loop BB4_797 Depth=2
                                        ;       Parent Loop BB4_800 Depth=3
                                        ; =>      This Inner Loop Header: Depth=4
	s_add_i32 s76, s76, 1
	s_cmpk_lg_i32 s76, 0x2710
	s_cselect_b32 s77, -1, 0
	s_and_b32 vcc_lo, exec_lo, s77
	s_cbranch_vccz .LBB4_838
; %bb.837:                              ;   in Loop: Header=BB4_836 Depth=4
	s_mov_b32 s79, -1
	s_or_b32 s75, s75, exec_lo
	s_and_saveexec_b32 s78, s77
	s_cbranch_execz .LBB4_835
	s_branch .LBB4_839
	.p2align	6
.LBB4_838:                              ;   in Loop: Header=BB4_836 Depth=4
	s_trap 2
	ds_read_b64 v[8:9], v0
	s_andn2_b32 s77, s77, exec_lo
	s_mov_b32 s76, 0
	s_waitcnt lgkmcnt(0)
	flat_load_dword v2, v[8:9] glc dlc
	s_waitcnt vmcnt(0) lgkmcnt(0)
	buffer_gl1_inv
	buffer_gl0_inv
	v_cmp_eq_u32_e32 vcc_lo, 0, v2
	s_and_b32 s78, vcc_lo, exec_lo
	s_or_b32 s77, s77, s78
	s_mov_b32 s79, -1
	s_or_b32 s75, s75, exec_lo
	s_and_saveexec_b32 s78, s77
	s_cbranch_execz .LBB4_835
.LBB4_839:                              ;   in Loop: Header=BB4_836 Depth=4
	s_sleep 1
	s_trap 2
	ds_read_b64 v[8:9], v0
	s_waitcnt lgkmcnt(0)
	buffer_gl0_inv
	s_andn2_b32 s75, s75, exec_lo
	v_cmp_ge_u64_e32 vcc_lo, v[8:9], v[12:13]
	s_orn2_b32 s79, vcc_lo, exec_lo
	s_branch .LBB4_835
.LBB4_840:                              ;   in Loop: Header=BB4_800 Depth=3
	s_inst_prefetch 0x2
	s_or_b32 exec_lo, exec_lo, s20
	s_and_saveexec_b32 s20, s21
	s_xor_b32 s20, exec_lo, s20
	s_cbranch_execz .LBB4_842
; %bb.841:                              ;   in Loop: Header=BB4_800 Depth=3
	ds_write_b32 v0, v98
	s_trap 2
.LBB4_842:                              ;   in Loop: Header=BB4_800 Depth=3
	s_or_b32 exec_lo, exec_lo, s19
	;;#ASMSTART
	s_wakeup
	;;#ASMEND
.LBB4_843:                              ;   in Loop: Header=BB4_800 Depth=3
	s_or_b32 exec_lo, exec_lo, s18
.LBB4_844:                              ;   in Loop: Header=BB4_800 Depth=3
	s_andn2_saveexec_b32 s17, s17
	s_cbranch_execz .LBB4_846
; %bb.845:                              ;   in Loop: Header=BB4_800 Depth=3
	s_waitcnt vmcnt(0) lgkmcnt(0)
	s_waitcnt_vscnt null, 0x0
	buffer_gl1_inv
	buffer_gl0_inv
	s_barrier
.LBB4_846:                              ;   in Loop: Header=BB4_800 Depth=3
	s_or_b32 exec_lo, exec_lo, s17
.LBB4_847:                              ;   in Loop: Header=BB4_800 Depth=3
	s_or_b32 exec_lo, exec_lo, s16
	s_trap 2
	ds_read_b32 v8, v0
	v_and_b32_e32 v2, 0x4000, v85
	s_xor_b32 s16, s5, -1
	v_cmp_ne_u32_e32 vcc_lo, 0, v2
	s_and_b32 s17, s16, vcc_lo
	s_and_saveexec_b32 s16, s17
	s_cbranch_execz .LBB4_866
; %bb.848:                              ;   in Loop: Header=BB4_800 Depth=3
	s_and_saveexec_b32 s17, s42
	s_xor_b32 s17, exec_lo, s17
	s_cbranch_execz .LBB4_863
; %bb.849:                              ;   in Loop: Header=BB4_800 Depth=3
	s_and_saveexec_b32 s18, s11
	s_cbranch_execz .LBB4_862
; %bb.850:                              ;   in Loop: Header=BB4_800 Depth=3
	s_mov_b32 s20, exec_lo
	s_mov_b32 s19, exec_lo
	v_mbcnt_lo_u32_b32 v2, s20, 0
	s_waitcnt vmcnt(0) lgkmcnt(0)
	s_waitcnt_vscnt null, 0x0
	buffer_gl1_inv
	buffer_gl0_inv
	v_cmpx_eq_u32_e32 0, v2
	s_cbranch_execz .LBB4_852
; %bb.851:                              ;   in Loop: Header=BB4_800 Depth=3
	s_bcnt1_i32_b32 s20, s20
	v_mov_b32_e32 v2, s20
	ds_add_u64 v0, v[2:3]
	s_trap 2
.LBB4_852:                              ;   in Loop: Header=BB4_800 Depth=3
	s_or_b32 exec_lo, exec_lo, s19
	s_trap 2
	ds_read_b64 v[9:10], v0
	s_waitcnt lgkmcnt(0)
	buffer_gl0_inv
	v_add_co_u32 v12, vcc_lo, v12, v87
	v_add_co_ci_u32_e64 v13, null, 0, v13, vcc_lo
	s_mov_b32 s19, exec_lo
	v_cmpx_lt_u64_e64 v[9:10], v[12:13]
	s_cbranch_execz .LBB4_861
; %bb.853:                              ;   in Loop: Header=BB4_800 Depth=3
	s_mov_b32 s20, 0
	s_mov_b32 s76, 0
                                        ; implicit-def: $sgpr21
                                        ; implicit-def: $sgpr75
	s_inst_prefetch 0x1
	s_branch .LBB4_855
	.p2align	6
.LBB4_854:                              ;   in Loop: Header=BB4_855 Depth=4
	s_or_b32 exec_lo, exec_lo, s78
	s_and_b32 s77, exec_lo, s79
	s_or_b32 s20, s77, s20
	s_andn2_b32 s21, s21, exec_lo
	s_and_b32 s77, s75, exec_lo
	s_or_b32 s21, s21, s77
	s_andn2_b32 exec_lo, exec_lo, s20
	s_cbranch_execz .LBB4_859
.LBB4_855:                              ;   Parent Loop BB4_47 Depth=1
                                        ;     Parent Loop BB4_797 Depth=2
                                        ;       Parent Loop BB4_800 Depth=3
                                        ; =>      This Inner Loop Header: Depth=4
	s_add_i32 s76, s76, 1
	s_cmpk_lg_i32 s76, 0x2710
	s_cselect_b32 s77, -1, 0
	s_and_b32 vcc_lo, exec_lo, s77
	s_cbranch_vccz .LBB4_857
; %bb.856:                              ;   in Loop: Header=BB4_855 Depth=4
	s_mov_b32 s79, -1
	s_or_b32 s75, s75, exec_lo
	s_and_saveexec_b32 s78, s77
	s_cbranch_execz .LBB4_854
	s_branch .LBB4_858
	.p2align	6
.LBB4_857:                              ;   in Loop: Header=BB4_855 Depth=4
	s_trap 2
	ds_read_b64 v[9:10], v0
	s_andn2_b32 s77, s77, exec_lo
	s_mov_b32 s76, 0
	s_waitcnt lgkmcnt(0)
	flat_load_dword v2, v[9:10] glc dlc
	s_waitcnt vmcnt(0) lgkmcnt(0)
	buffer_gl1_inv
	buffer_gl0_inv
	v_cmp_eq_u32_e32 vcc_lo, 0, v2
	s_and_b32 s78, vcc_lo, exec_lo
	s_or_b32 s77, s77, s78
	s_mov_b32 s79, -1
	s_or_b32 s75, s75, exec_lo
	s_and_saveexec_b32 s78, s77
	s_cbranch_execz .LBB4_854
.LBB4_858:                              ;   in Loop: Header=BB4_855 Depth=4
	s_sleep 1
	s_trap 2
	ds_read_b64 v[9:10], v0
	s_waitcnt lgkmcnt(0)
	buffer_gl0_inv
	s_andn2_b32 s75, s75, exec_lo
	v_cmp_ge_u64_e32 vcc_lo, v[9:10], v[12:13]
	s_orn2_b32 s79, vcc_lo, exec_lo
	s_branch .LBB4_854
.LBB4_859:                              ;   in Loop: Header=BB4_800 Depth=3
	s_inst_prefetch 0x2
	s_or_b32 exec_lo, exec_lo, s20
	s_and_saveexec_b32 s20, s21
	s_xor_b32 s20, exec_lo, s20
	s_cbranch_execz .LBB4_861
; %bb.860:                              ;   in Loop: Header=BB4_800 Depth=3
	ds_write_b32 v0, v98
	s_trap 2
.LBB4_861:                              ;   in Loop: Header=BB4_800 Depth=3
	s_or_b32 exec_lo, exec_lo, s19
	;;#ASMSTART
	s_wakeup
	;;#ASMEND
.LBB4_862:                              ;   in Loop: Header=BB4_800 Depth=3
	s_or_b32 exec_lo, exec_lo, s18
.LBB4_863:                              ;   in Loop: Header=BB4_800 Depth=3
	s_andn2_saveexec_b32 s17, s17
	s_cbranch_execz .LBB4_865
; %bb.864:                              ;   in Loop: Header=BB4_800 Depth=3
	s_waitcnt vmcnt(0) lgkmcnt(0)
	s_waitcnt_vscnt null, 0x0
	buffer_gl1_inv
	buffer_gl0_inv
	s_barrier
.LBB4_865:                              ;   in Loop: Header=BB4_800 Depth=3
	s_or_b32 exec_lo, exec_lo, s17
.LBB4_866:                              ;   in Loop: Header=BB4_800 Depth=3
	s_or_b32 exec_lo, exec_lo, s16
	s_trap 2
	ds_read_b64 v[64:65], v0
	s_waitcnt lgkmcnt(0)
	v_cmp_eq_u64_e32 vcc_lo, 0, v[64:65]
	s_cbranch_vccnz .LBB4_875
; %bb.867:                              ;   in Loop: Header=BB4_800 Depth=3
	s_trap 2
	ds_read_b64 v[66:67], v0
	s_waitcnt lgkmcnt(0)
	v_cmp_eq_u64_e32 vcc_lo, 0, v[66:67]
	s_cbranch_vccnz .LBB4_875
; %bb.868:                              ;   in Loop: Header=BB4_800 Depth=3
	s_trap 2
	ds_read_b64 v[68:69], v0
	v_cmp_eq_u32_e32 vcc_lo, 0, v8
	s_mov_b32 s16, -1
	v_cndmask_b32_e32 v2, 0, v50, vcc_lo
	v_lshlrev_b32_e32 v51, 3, v2
	s_waitcnt lgkmcnt(0)
	v_cmp_ne_u64_e32 vcc_lo, 0, v[68:69]
	s_cbranch_vccz .LBB4_904
; %bb.869:                              ;   in Loop: Header=BB4_800 Depth=3
	s_and_saveexec_b32 s17, s13
	s_cbranch_execz .LBB4_871
; %bb.870:                              ;   in Loop: Header=BB4_800 Depth=3
	ds_read_b32 v8, v0 offset:720
	s_waitcnt lgkmcnt(0)
	v_and_b32_e32 v8, 15, v8
	v_cmp_eq_u32_e32 vcc_lo, 0, v8
	s_orn2_b32 s16, vcc_lo, exec_lo
.LBB4_871:                              ;   in Loop: Header=BB4_800 Depth=3
	s_or_b32 exec_lo, exec_lo, s17
	s_and_saveexec_b32 s17, s14
	s_cbranch_execz .LBB4_873
; %bb.872:                              ;   in Loop: Header=BB4_800 Depth=3
	ds_read_b32 v8, v0 offset:784
	s_waitcnt lgkmcnt(0)
	v_and_b32_e32 v8, 15, v8
	v_cmp_eq_u32_e32 vcc_lo, 0, v8
	s_and_b32 s18, s16, vcc_lo
	s_andn2_b32 s16, s16, exec_lo
	s_and_b32 s18, s18, exec_lo
	s_or_b32 s16, s16, s18
.LBB4_873:                              ;   in Loop: Header=BB4_800 Depth=3
	s_or_b32 exec_lo, exec_lo, s17
	s_xor_b32 s16, s16, -1
	v_mov_b32_e32 v81, 0
	v_cndmask_b32_e64 v8, 0, 1, s16
	v_mov_b32_e32 v82, v51
	v_mov_b32_e32 v83, v0
	s_mov_b32 s16, -1
	v_cmp_ne_u32_e32 vcc_lo, 0, v8
	s_cbranch_vccz .LBB4_880
; %bb.874:                              ;   in Loop: Header=BB4_800 Depth=3
	s_and_saveexec_b32 s20, s16
	s_cbranch_execnz .LBB4_893
	s_branch .LBB4_903
.LBB4_875:                              ;   in Loop: Header=BB4_800 Depth=3
	s_mov_b32 s16, 0
	s_and_saveexec_b32 s17, s6
	s_cbranch_execnz .LBB4_932
.LBB4_876:                              ;   in Loop: Header=BB4_800 Depth=3
	s_or_b32 exec_lo, exec_lo, s17
                                        ; implicit-def: $vgpr2
	s_and_saveexec_b32 s17, s15
	s_xor_b32 s17, exec_lo, s17
	s_cbranch_execz .LBB4_950
.LBB4_877:                              ;   in Loop: Header=BB4_800 Depth=3
	v_and_b32_e32 v2, 16, v85
	v_cmp_ne_u32_e32 vcc_lo, 0, v2
	v_and_b32_e32 v2, 16, v85
	s_and_b32 s18, vcc_lo, s16
	s_and_saveexec_b32 s16, s18
	s_cbranch_execz .LBB4_879
; %bb.878:                              ;   in Loop: Header=BB4_800 Depth=3
	v_mov_b32_e32 v2, 1
	s_waitcnt vmcnt(0) lgkmcnt(0)
	s_waitcnt_vscnt null, 0x0
	buffer_gl1_inv
	buffer_gl0_inv
.LBB4_879:                              ;   in Loop: Header=BB4_800 Depth=3
	s_or_b32 exec_lo, exec_lo, s16
	s_andn2_saveexec_b32 s16, s17
	s_cbranch_execz .LBB4_969
	s_branch .LBB4_951
.LBB4_880:                              ;   in Loop: Header=BB4_800 Depth=3
	v_ashrrev_i32_e32 v8, 31, v51
	s_mov_b32 s17, exec_lo
	v_lshrrev_b32_e32 v8, 22, v8
	v_add_nc_u32_e32 v8, v51, v8
	v_ashrrev_i32_e32 v53, 10, v8
	v_sub_nc_u32_e32 v43, v53, v97
	v_cmpx_lt_i32_e32 0, v43
	s_cbranch_execz .LBB4_884
; %bb.881:                              ;   in Loop: Header=BB4_800 Depth=3
	v_add_co_u32 v8, vcc_lo, v64, v113
	v_add_co_ci_u32_e64 v9, null, 0, v65, vcc_lo
	v_add_co_u32 v10, vcc_lo, v66, v113
	v_add_co_ci_u32_e64 v11, null, 0, v67, vcc_lo
	v_add_co_u32 v70, vcc_lo, v68, v113
	v_add_co_ci_u32_e64 v71, null, 0, v69, vcc_lo
	s_mov_b32 s18, 0
	.p2align	6
.LBB4_882:                              ;   Parent Loop BB4_47 Depth=1
                                        ;     Parent Loop BB4_797 Depth=2
                                        ;       Parent Loop BB4_800 Depth=3
                                        ; =>      This Inner Loop Header: Depth=4
	s_clause 0x1
	global_load_dwordx4 v[44:47], v[8:9], off slc
	global_load_dwordx4 v[56:59], v[8:9], off offset:512 slc
	v_sub_nc_u32_e32 v43, v43, v87
	v_add_co_u32 v8, vcc_lo, v8, v112
	v_add_co_ci_u32_e64 v9, null, 0, v9, vcc_lo
	v_cmp_gt_i32_e32 vcc_lo, 1, v43
	s_waitcnt vmcnt(1)
	global_store_dwordx4 v[10:11], v[44:47], off glc slc
	s_waitcnt vmcnt(0)
	global_store_dwordx4 v[10:11], v[56:59], off offset:512 glc slc
	global_store_dwordx4 v[70:71], v[44:47], off glc slc
	global_store_dwordx4 v[70:71], v[56:59], off offset:512 glc slc
	v_add_co_u32 v10, s16, v10, v112
	v_add_co_ci_u32_e64 v11, null, 0, v11, s16
	v_add_co_u32 v70, s16, v70, v112
	v_add_co_ci_u32_e64 v71, null, 0, v71, s16
	s_or_b32 s18, vcc_lo, s18
	s_andn2_b32 exec_lo, exec_lo, s18
	s_cbranch_execnz .LBB4_882
; %bb.883:                              ;   in Loop: Header=BB4_800 Depth=3
	s_or_b32 exec_lo, exec_lo, s18
.LBB4_884:                              ;   in Loop: Header=BB4_800 Depth=3
	s_or_b32 exec_lo, exec_lo, s17
	v_lshlrev_b32_e32 v53, 10, v53
	v_mov_b32_e32 v81, 0
	s_mov_b32 s16, 0
	s_mov_b32 s19, exec_lo
                                        ; implicit-def: $vgpr82
                                        ; implicit-def: $vgpr83
	v_cmpx_ne_u32_e64 v51, v53
	s_cbranch_execz .LBB4_892
; %bb.885:                              ;   in Loop: Header=BB4_800 Depth=3
	v_lshlrev_b32_e32 v8, 5, v43
	v_sub_nc_u32_e32 v10, v51, v53
	s_mov_b32 s75, exec_lo
	v_sub_nc_u32_e32 v8, v96, v8
	v_ashrrev_i32_e32 v11, 31, v10
	v_ashrrev_i32_e32 v9, 31, v8
	v_lshrrev_b32_e32 v11, 23, v11
	v_lshrrev_b32_e32 v9, 27, v9
	v_add_nc_u32_e32 v11, v10, v11
	v_add_nc_u32_e32 v9, v8, v9
	v_and_b32_e32 v81, 0xfffffe00, v11
	v_ashrrev_i32_e32 v11, 9, v11
	v_and_b32_e32 v70, 0xffffffe0, v9
	v_sub_nc_u32_e32 v82, v10, v81
	v_ashrrev_i32_e32 v9, 5, v9
	v_sub_nc_u32_e32 v83, v8, v70
	v_cmp_lt_i32_e64 s16, 15, v82
	v_lshlrev_b32_e32 v8, 4, v83
	v_add_co_ci_u32_e64 v11, null, 0, v11, s16
	v_lshl_add_u32 v8, v9, 9, v8
	v_sub_nc_u32_e32 v43, v11, v9
	v_sub_nc_u32_e32 v44, v10, v8
	v_cmpx_lt_i32_e32 15, v44
	s_cbranch_execz .LBB4_891
; %bb.886:                              ;   in Loop: Header=BB4_800 Depth=3
	v_add_nc_u32_e32 v8, v8, v53
	s_mov_b32 s76, 0
	v_ashrrev_i32_e32 v9, 31, v8
	v_add_co_u32 v70, vcc_lo, v8, v64
	v_add_co_ci_u32_e64 v71, null, v9, v65, vcc_lo
	v_add_co_u32 v45, vcc_lo, v8, v66
	v_add_co_ci_u32_e64 v46, null, v9, v67, vcc_lo
	;; [unrolled: 2-line block ×3, first 2 shown]
	s_inst_prefetch 0x1
	.p2align	6
.LBB4_887:                              ;   Parent Loop BB4_47 Depth=1
                                        ;     Parent Loop BB4_797 Depth=2
                                        ;       Parent Loop BB4_800 Depth=3
                                        ; =>      This Loop Header: Depth=4
                                        ;           Child Loop BB4_888 Depth 5
	global_load_dwordx4 v[8:11], v[70:71], off slc
	s_mov_b64 s[20:21], 0
	s_mov_b32 s77, -1
	.p2align	6
.LBB4_888:                              ;   Parent Loop BB4_47 Depth=1
                                        ;     Parent Loop BB4_797 Depth=2
                                        ;       Parent Loop BB4_800 Depth=3
                                        ;         Parent Loop BB4_887 Depth=4
                                        ; =>        This Inner Loop Header: Depth=5
	s_cmp_eq_u32 s20, 1
	s_cselect_b32 vcc_lo, -1, 0
	s_cmp_eq_u32 s20, 0
	v_cndmask_b32_e32 v57, v45, v47, vcc_lo
	v_cndmask_b32_e32 v58, v46, v56, vcc_lo
	s_mov_b64 s[20:21], 1
	v_add_co_u32 v59, s17, 0x200, v57
	v_add_co_ci_u32_e64 v60, null, 0, v58, s17
	s_cselect_b32 s17, -1, 0
	v_cndmask_b32_e32 v47, v47, v59, vcc_lo
	v_cndmask_b32_e64 v45, v45, v59, s17
	v_cndmask_b32_e32 v56, v56, v60, vcc_lo
	v_cndmask_b32_e64 v46, v46, v60, s17
	s_and_b32 s18, exec_lo, s77
	s_mov_b32 s77, 0
	s_mov_b32 vcc_lo, s18
	s_waitcnt vmcnt(0)
	global_store_dwordx4 v[57:58], v[8:11], off glc slc
	s_cbranch_vccnz .LBB4_888
; %bb.889:                              ;   in Loop: Header=BB4_887 Depth=4
	v_sub_nc_u32_e32 v44, v44, v102
	v_add_co_u32 v45, vcc_lo, v45, v114
	v_add_co_ci_u32_e64 v46, null, v46, v117, vcc_lo
	v_add_co_u32 v47, vcc_lo, v47, v114
	v_add_co_ci_u32_e64 v56, null, v56, v117, vcc_lo
	v_cmp_gt_i32_e32 vcc_lo, 16, v44
	v_add_co_u32 v70, s17, v119, v70
	v_add_co_ci_u32_e64 v71, null, v40, v71, s17
	v_sub_nc_u32_e32 v43, v43, v87
	s_or_b32 s76, vcc_lo, s76
	s_andn2_b32 exec_lo, exec_lo, s76
	s_cbranch_execnz .LBB4_887
; %bb.890:                              ;   in Loop: Header=BB4_800 Depth=3
	s_inst_prefetch 0x2
	s_or_b32 exec_lo, exec_lo, s76
.LBB4_891:                              ;   in Loop: Header=BB4_800 Depth=3
	s_or_b32 exec_lo, exec_lo, s75
	v_and_b32_e32 v8, 8, v51
	v_cmp_lt_i32_e32 vcc_lo, 0, v43
	v_sub_nc_u32_e32 v9, v82, v8
	v_cndmask_b32_e32 v10, 0, v87, vcc_lo
	v_cndmask_b32_e64 v82, v82, v8, s16
	v_cndmask_b32_e64 v8, 0, v9, s16
	v_sub_nc_u32_e32 v9, v10, v43
	v_cmp_ne_u32_e32 vcc_lo, 0, v82
	v_add3_u32 v81, v81, v53, v8
	v_lshl_add_u32 v83, v9, 5, v83
	s_and_b32 s16, vcc_lo, exec_lo
.LBB4_892:                              ;   in Loop: Header=BB4_800 Depth=3
	s_or_b32 exec_lo, exec_lo, s19
	s_and_saveexec_b32 s20, s16
	s_cbranch_execz .LBB4_903
.LBB4_893:                              ;   in Loop: Header=BB4_800 Depth=3
	v_ashrrev_i32_e32 v8, 31, v83
	v_ashrrev_i32_e32 v9, 31, v82
	s_mov_b32 s17, exec_lo
	v_lshrrev_b32_e32 v8, 27, v8
	v_lshrrev_b32_e32 v9, 23, v9
	v_add_nc_u32_e32 v8, v83, v8
	v_add_nc_u32_e32 v9, v82, v9
	v_ashrrev_i32_e32 v53, 5, v8
	v_ashrrev_i32_e32 v44, 9, v9
	v_sub_nc_u32_e32 v43, v44, v53
	v_cmpx_lt_i32_e32 0, v43
	s_cbranch_execz .LBB4_897
; %bb.894:                              ;   in Loop: Header=BB4_800 Depth=3
	v_and_b32_e32 v8, 0x1fffffe0, v8
	v_lshlrev_b32_e32 v9, 9, v53
	s_mov_b32 s18, 0
	v_sub_nc_u32_e32 v8, v83, v8
	v_lshlrev_b32_e32 v8, 3, v8
	v_add3_u32 v70, v8, v81, v9
	v_ashrrev_i32_e32 v71, 31, v70
	v_add_co_u32 v8, vcc_lo, v70, v64
	v_add_co_ci_u32_e64 v9, null, v71, v65, vcc_lo
	v_add_co_u32 v10, vcc_lo, v70, v66
	v_add_co_ci_u32_e64 v11, null, v71, v67, vcc_lo
	;; [unrolled: 2-line block ×3, first 2 shown]
	.p2align	6
.LBB4_895:                              ;   Parent Loop BB4_47 Depth=1
                                        ;     Parent Loop BB4_797 Depth=2
                                        ;       Parent Loop BB4_800 Depth=3
                                        ; =>      This Inner Loop Header: Depth=4
	s_clause 0x1
	flat_load_dwordx2 v[45:46], v[8:9] slc
	flat_load_dwordx2 v[56:57], v[8:9] offset:256 slc
	v_sub_nc_u32_e32 v43, v43, v87
	v_add_co_u32 v8, vcc_lo, v8, v102
	v_add_co_ci_u32_e64 v9, null, 0, v9, vcc_lo
	v_cmp_gt_i32_e32 vcc_lo, 1, v43
	s_waitcnt vmcnt(1) lgkmcnt(1)
	flat_store_dwordx2 v[10:11], v[45:46] glc slc
	s_waitcnt vmcnt(0) lgkmcnt(1)
	flat_store_dwordx2 v[10:11], v[56:57] offset:256 glc slc
	flat_store_dwordx2 v[70:71], v[45:46] glc slc
	flat_store_dwordx2 v[70:71], v[56:57] offset:256 glc slc
	v_add_co_u32 v10, s16, v10, v102
	v_add_co_ci_u32_e64 v11, null, 0, v11, s16
	v_add_co_u32 v70, s16, v70, v102
	v_add_co_ci_u32_e64 v71, null, 0, v71, s16
	s_or_b32 s18, vcc_lo, s18
	s_andn2_b32 exec_lo, exec_lo, s18
	s_cbranch_execnz .LBB4_895
; %bb.896:                              ;   in Loop: Header=BB4_800 Depth=3
	s_or_b32 exec_lo, exec_lo, s18
.LBB4_897:                              ;   in Loop: Header=BB4_800 Depth=3
	s_or_b32 exec_lo, exec_lo, s17
	v_lshlrev_b32_e32 v8, 9, v44
	v_cmp_ne_u32_e32 vcc_lo, v82, v8
	s_and_b32 exec_lo, exec_lo, vcc_lo
	s_cbranch_execz .LBB4_903
; %bb.898:                              ;   in Loop: Header=BB4_800 Depth=3
	v_lshlrev_b32_e32 v9, 5, v53
	v_lshlrev_b32_e32 v10, 5, v43
	v_sub_nc_u32_e32 v9, v83, v9
	v_sub_nc_u32_e32 v9, v9, v10
	v_ashrrev_i32_e32 v10, 31, v9
	v_lshrrev_b32_e32 v10, 27, v10
	v_add_nc_u32_e32 v10, v9, v10
	v_and_b32_e32 v11, 0x1fffffe0, v10
	v_lshlrev_b32_e32 v10, 3, v10
	v_sub_nc_u32_e32 v9, v9, v11
	v_and_b32_e32 v10, 0xffffff00, v10
	v_lshlrev_b32_e32 v9, 3, v9
	v_add3_u32 v8, v10, v9, v8
	v_sub_nc_u32_e32 v53, v82, v8
	v_cmp_lt_i32_e32 vcc_lo, 7, v53
	s_and_b32 exec_lo, exec_lo, vcc_lo
	s_cbranch_execz .LBB4_903
; %bb.899:                              ;   in Loop: Header=BB4_800 Depth=3
	v_add_nc_u32_e32 v10, v8, v81
	s_mov_b32 s21, 0
	v_ashrrev_i32_e32 v11, 31, v10
	v_add_co_u32 v8, vcc_lo, v10, v64
	v_add_co_ci_u32_e64 v9, null, v11, v65, vcc_lo
	v_add_co_u32 v70, vcc_lo, v10, v66
	v_add_co_ci_u32_e64 v71, null, v11, v67, vcc_lo
	;; [unrolled: 2-line block ×3, first 2 shown]
	s_inst_prefetch 0x1
	.p2align	6
.LBB4_900:                              ;   Parent Loop BB4_47 Depth=1
                                        ;     Parent Loop BB4_797 Depth=2
                                        ;       Parent Loop BB4_800 Depth=3
                                        ; =>      This Loop Header: Depth=4
                                        ;           Child Loop BB4_901 Depth 5
	flat_load_dwordx2 v[10:11], v[8:9] slc
	s_mov_b64 s[18:19], 0
	s_mov_b32 s75, -1
	.p2align	6
.LBB4_901:                              ;   Parent Loop BB4_47 Depth=1
                                        ;     Parent Loop BB4_797 Depth=2
                                        ;       Parent Loop BB4_800 Depth=3
                                        ;         Parent Loop BB4_900 Depth=4
                                        ; =>        This Inner Loop Header: Depth=5
	s_cmp_eq_u32 s18, 1
	s_cselect_b32 vcc_lo, -1, 0
	s_cmp_eq_u32 s18, 0
	v_cndmask_b32_e32 v81, v70, v68, vcc_lo
	v_cndmask_b32_e32 v82, v71, v69, vcc_lo
	s_mov_b64 s[18:19], 1
	v_add_co_u32 v83, s16, 0x100, v81
	v_add_co_ci_u32_e64 v43, null, 0, v82, s16
	s_cselect_b32 s16, -1, 0
	v_cndmask_b32_e32 v68, v68, v83, vcc_lo
	v_cndmask_b32_e64 v70, v70, v83, s16
	v_cndmask_b32_e32 v69, v69, v43, vcc_lo
	v_cndmask_b32_e64 v71, v71, v43, s16
	s_and_b32 s17, exec_lo, s75
	s_mov_b32 s75, 0
	s_mov_b32 vcc_lo, s17
	s_waitcnt vmcnt(0) lgkmcnt(0)
	flat_store_dwordx2 v[81:82], v[10:11] glc slc
	s_cbranch_vccnz .LBB4_901
; %bb.902:                              ;   in Loop: Header=BB4_900 Depth=4
	v_sub_nc_u32_e32 v53, v53, v103
	v_add_co_u32 v70, vcc_lo, v70, v115
	v_add_co_ci_u32_e64 v71, null, v71, v118, vcc_lo
	v_add_co_u32 v68, vcc_lo, v68, v115
	v_add_co_ci_u32_e64 v69, null, v69, v118, vcc_lo
	v_cmp_gt_i32_e32 vcc_lo, 8, v53
	v_add_co_u32 v8, s16, v41, v8
	v_add_co_ci_u32_e64 v9, null, v42, v9, s16
	s_or_b32 s21, vcc_lo, s21
	s_andn2_b32 exec_lo, exec_lo, s21
	s_cbranch_execnz .LBB4_900
.LBB4_903:                              ;   in Loop: Header=BB4_800 Depth=3
	s_inst_prefetch 0x2
	s_or_b32 exec_lo, exec_lo, s20
	s_mov_b32 s16, 0
.LBB4_904:                              ;   in Loop: Header=BB4_800 Depth=3
	s_and_b32 vcc_lo, exec_lo, s16
	s_cbranch_vccz .LBB4_931
; %bb.905:                              ;   in Loop: Header=BB4_800 Depth=3
	s_mov_b32 s16, -1
	s_and_saveexec_b32 s17, s13
	s_cbranch_execz .LBB4_907
; %bb.906:                              ;   in Loop: Header=BB4_800 Depth=3
	ds_read_b32 v8, v0 offset:720
	s_waitcnt lgkmcnt(0)
	v_and_b32_e32 v8, 15, v8
	v_cmp_eq_u32_e32 vcc_lo, 0, v8
	s_orn2_b32 s16, vcc_lo, exec_lo
.LBB4_907:                              ;   in Loop: Header=BB4_800 Depth=3
	s_or_b32 exec_lo, exec_lo, s17
	s_and_saveexec_b32 s17, s12
	s_cbranch_execz .LBB4_909
; %bb.908:                              ;   in Loop: Header=BB4_800 Depth=3
	ds_read_b32 v8, v0 offset:784
	s_waitcnt lgkmcnt(0)
	v_and_b32_e32 v8, 15, v8
	v_cmp_eq_u32_e32 vcc_lo, 0, v8
	s_and_b32 s18, s16, vcc_lo
	s_andn2_b32 s16, s16, exec_lo
	s_and_b32 s18, s18, exec_lo
	s_or_b32 s16, s16, s18
.LBB4_909:                              ;   in Loop: Header=BB4_800 Depth=3
	s_or_b32 exec_lo, exec_lo, s17
	s_xor_b32 s16, s16, -1
	v_cndmask_b32_e64 v8, 0, 1, s16
	s_mov_b32 s16, -1
	v_cmp_ne_u32_e32 vcc_lo, 0, v8
	v_mov_b32_e32 v8, 0
	s_cbranch_vccz .LBB4_911
; %bb.910:                              ;   in Loop: Header=BB4_800 Depth=3
	v_mov_b32_e32 v9, v0
	s_and_saveexec_b32 s17, s16
	s_cbranch_execnz .LBB4_922
	s_branch .LBB4_930
.LBB4_911:                              ;   in Loop: Header=BB4_800 Depth=3
	v_ashrrev_i32_e32 v8, 31, v51
	s_mov_b32 s17, exec_lo
	v_lshrrev_b32_e32 v8, 21, v8
	v_add_nc_u32_e32 v8, v51, v8
	v_ashrrev_i32_e32 v68, 11, v8
	v_sub_nc_u32_e32 v53, v68, v97
	v_cmpx_lt_i32_e32 0, v53
	s_cbranch_execz .LBB4_915
; %bb.912:                              ;   in Loop: Header=BB4_800 Depth=3
	v_mov_b32_e32 v8, v66
	v_mov_b32_e32 v10, v64
	;; [unrolled: 1-line block ×4, first 2 shown]
	s_mov_b32 s18, 0
	s_inst_prefetch 0x1
	.p2align	6
.LBB4_913:                              ;   Parent Loop BB4_47 Depth=1
                                        ;     Parent Loop BB4_797 Depth=2
                                        ;       Parent Loop BB4_800 Depth=3
                                        ; =>      This Inner Loop Header: Depth=4
	v_add_co_u32 v69, vcc_lo, v116, v10
	v_add_co_ci_u32_e64 v70, null, 0, v11, vcc_lo
	v_sub_nc_u32_e32 v53, v53, v87
	v_add_co_u32 v81, vcc_lo, v116, v8
	s_clause 0x3
	global_load_dwordx4 v[43:46], v[69:70], off slc
	global_load_dwordx4 v[56:59], v[69:70], off offset:512 slc
	global_load_dwordx4 v[60:63], v[69:70], off offset:1024 slc
	global_load_dwordx4 v[69:72], v[69:70], off offset:1536 slc
	v_add_co_ci_u32_e64 v82, null, 0, v9, vcc_lo
	v_add_co_u32 v10, vcc_lo, v10, v101
	v_add_co_ci_u32_e64 v11, null, 0, v11, vcc_lo
	v_add_co_u32 v8, vcc_lo, v8, v101
	v_cmp_gt_i32_e64 s16, 1, v53
	v_add_co_ci_u32_e64 v9, null, 0, v9, vcc_lo
	s_waitcnt vmcnt(3)
	global_store_dwordx4 v[81:82], v[43:46], off glc slc
	s_waitcnt vmcnt(2)
	global_store_dwordx4 v[81:82], v[56:59], off offset:512 glc slc
	s_waitcnt vmcnt(1)
	global_store_dwordx4 v[81:82], v[60:63], off offset:1024 glc slc
	;; [unrolled: 2-line block ×3, first 2 shown]
	s_or_b32 s18, s16, s18
	s_andn2_b32 exec_lo, exec_lo, s18
	s_cbranch_execnz .LBB4_913
; %bb.914:                              ;   in Loop: Header=BB4_800 Depth=3
	s_inst_prefetch 0x2
	s_or_b32 exec_lo, exec_lo, s18
.LBB4_915:                              ;   in Loop: Header=BB4_800 Depth=3
	s_or_b32 exec_lo, exec_lo, s17
	v_lshlrev_b32_e32 v10, 11, v68
	v_mov_b32_e32 v8, 0
	s_mov_b32 s16, 0
	s_mov_b32 s18, exec_lo
                                        ; implicit-def: $vgpr9
	v_cmpx_ne_u32_e64 v51, v10
	s_cbranch_execz .LBB4_921
; %bb.916:                              ;   in Loop: Header=BB4_800 Depth=3
	v_lshlrev_b32_e32 v8, 5, v53
	v_sub_nc_u32_e32 v53, v51, v10
	s_mov_b32 s19, exec_lo
	v_sub_nc_u32_e32 v8, v96, v8
	v_ashrrev_i32_e32 v11, 31, v53
	v_ashrrev_i32_e32 v9, 31, v8
	v_lshrrev_b32_e32 v9, 27, v9
	v_add_nc_u32_e32 v68, v8, v9
	v_lshrrev_b32_e32 v9, 23, v11
	v_and_b32_e32 v11, 0xffffffe0, v68
	v_add_nc_u32_e32 v69, v53, v9
	v_ashrrev_i32_e32 v70, 5, v68
	v_sub_nc_u32_e32 v9, v8, v11
	v_and_b32_e32 v8, 0xfffffe00, v69
	v_ashrrev_i32_e32 v71, 9, v69
	v_lshlrev_b32_e32 v68, 4, v9
	v_sub_nc_u32_e32 v11, v53, v8
	v_lshl_add_u32 v69, v70, 9, v68
	v_cmp_lt_i32_e32 vcc_lo, 15, v11
	v_sub_nc_u32_e32 v68, v53, v69
	v_add_co_ci_u32_e64 v71, null, 0, v71, vcc_lo
	v_sub_nc_u32_e32 v53, v71, v70
	v_cmpx_lt_i32_e32 15, v68
	s_cbranch_execz .LBB4_920
; %bb.917:                              ;   in Loop: Header=BB4_800 Depth=3
	v_add_nc_u32_e32 v69, v69, v10
	s_mov_b32 s20, 0
	v_ashrrev_i32_e32 v70, 31, v69
	.p2align	6
.LBB4_918:                              ;   Parent Loop BB4_47 Depth=1
                                        ;     Parent Loop BB4_797 Depth=2
                                        ;       Parent Loop BB4_800 Depth=3
                                        ; =>      This Inner Loop Header: Depth=4
	v_add_co_u32 v81, s16, v64, v69
	v_add_co_ci_u32_e64 v82, null, v65, v70, s16
	v_sub_nc_u32_e32 v68, v68, v102
	v_sub_nc_u32_e32 v53, v53, v87
	global_load_dwordx4 v[43:46], v[81:82], off slc
	v_add_co_u32 v81, s16, v66, v69
	v_add_co_ci_u32_e64 v82, null, v67, v70, s16
	v_cmp_gt_i32_e64 s16, 16, v68
	v_add_co_u32 v69, s17, v69, v102
	v_add_co_ci_u32_e64 v70, null, 0, v70, s17
	s_or_b32 s20, s16, s20
	s_waitcnt vmcnt(0)
	global_store_dwordx4 v[81:82], v[43:46], off glc slc
	s_andn2_b32 exec_lo, exec_lo, s20
	s_cbranch_execnz .LBB4_918
; %bb.919:                              ;   in Loop: Header=BB4_800 Depth=3
	s_or_b32 exec_lo, exec_lo, s20
.LBB4_920:                              ;   in Loop: Header=BB4_800 Depth=3
	s_or_b32 exec_lo, exec_lo, s19
	v_and_b32_e32 v51, 8, v51
	v_cmp_lt_i32_e64 s16, 0, v53
	v_sub_nc_u32_e32 v68, v11, v51
	v_cndmask_b32_e64 v69, 0, v87, s16
	v_cndmask_b32_e32 v51, v11, v51, vcc_lo
	v_cndmask_b32_e32 v11, 0, v68, vcc_lo
	v_sub_nc_u32_e32 v53, v69, v53
	v_cmp_ne_u32_e32 vcc_lo, 0, v51
	v_add3_u32 v8, v8, v10, v11
	v_lshl_add_u32 v9, v53, 5, v9
	s_and_b32 s16, vcc_lo, exec_lo
.LBB4_921:                              ;   in Loop: Header=BB4_800 Depth=3
	s_or_b32 exec_lo, exec_lo, s18
	s_and_saveexec_b32 s17, s16
	s_cbranch_execz .LBB4_930
.LBB4_922:                              ;   in Loop: Header=BB4_800 Depth=3
	v_ashrrev_i32_e32 v10, 31, v9
	v_ashrrev_i32_e32 v11, 31, v51
	s_mov_b32 s18, exec_lo
	v_lshrrev_b32_e32 v10, 27, v10
	v_lshrrev_b32_e32 v11, 23, v11
	v_add_nc_u32_e32 v68, v9, v10
	v_add_nc_u32_e32 v11, v51, v11
	v_ashrrev_i32_e32 v10, 5, v68
	v_ashrrev_i32_e32 v53, 9, v11
	v_sub_nc_u32_e32 v11, v53, v10
	v_cmpx_lt_i32_e32 0, v11
	s_cbranch_execz .LBB4_926
; %bb.923:                              ;   in Loop: Header=BB4_800 Depth=3
	v_and_b32_e32 v68, 0x1fffffe0, v68
	v_lshlrev_b32_e32 v69, 9, v10
	s_mov_b32 s19, 0
	v_sub_nc_u32_e32 v68, v9, v68
	v_lshlrev_b32_e32 v68, 3, v68
	v_add3_u32 v68, v68, v8, v69
	v_ashrrev_i32_e32 v69, 31, v68
	.p2align	6
.LBB4_924:                              ;   Parent Loop BB4_47 Depth=1
                                        ;     Parent Loop BB4_797 Depth=2
                                        ;       Parent Loop BB4_800 Depth=3
                                        ; =>      This Inner Loop Header: Depth=4
	v_add_co_u32 v70, vcc_lo, v64, v68
	v_add_co_ci_u32_e64 v71, null, v65, v69, vcc_lo
	v_sub_nc_u32_e32 v11, v11, v87
	v_add_co_u32 v43, vcc_lo, v66, v68
	s_clause 0x1
	flat_load_dwordx2 v[81:82], v[70:71] slc
	flat_load_dwordx2 v[70:71], v[70:71] offset:256 slc
	v_add_co_ci_u32_e64 v44, null, v67, v69, vcc_lo
	v_cmp_gt_i32_e32 vcc_lo, 1, v11
	v_add_co_u32 v68, s16, v68, v102
	v_add_co_ci_u32_e64 v69, null, 0, v69, s16
	s_or_b32 s19, vcc_lo, s19
	s_waitcnt vmcnt(1) lgkmcnt(1)
	flat_store_dwordx2 v[43:44], v[81:82] glc slc
	s_waitcnt vmcnt(0) lgkmcnt(1)
	flat_store_dwordx2 v[43:44], v[70:71] offset:256 glc slc
	s_andn2_b32 exec_lo, exec_lo, s19
	s_cbranch_execnz .LBB4_924
; %bb.925:                              ;   in Loop: Header=BB4_800 Depth=3
	s_or_b32 exec_lo, exec_lo, s19
.LBB4_926:                              ;   in Loop: Header=BB4_800 Depth=3
	s_or_b32 exec_lo, exec_lo, s18
	v_lshlrev_b32_e32 v53, 9, v53
	v_cmp_ne_u32_e32 vcc_lo, v51, v53
	s_and_b32 exec_lo, exec_lo, vcc_lo
	s_cbranch_execz .LBB4_930
; %bb.927:                              ;   in Loop: Header=BB4_800 Depth=3
	v_lshlrev_b32_e32 v10, 5, v10
	v_sub_nc_u32_e32 v9, v9, v10
	v_lshlrev_b32_e32 v10, 5, v11
	v_sub_nc_u32_e32 v9, v9, v10
	v_ashrrev_i32_e32 v10, 31, v9
	v_lshrrev_b32_e32 v10, 27, v10
	v_add_nc_u32_e32 v10, v9, v10
	v_and_b32_e32 v11, 0x1fffffe0, v10
	v_lshlrev_b32_e32 v10, 3, v10
	v_sub_nc_u32_e32 v9, v9, v11
	v_and_b32_e32 v10, 0xffffff00, v10
	v_lshlrev_b32_e32 v9, 3, v9
	v_add3_u32 v10, v10, v9, v53
	v_sub_nc_u32_e32 v9, v51, v10
	v_cmp_lt_i32_e32 vcc_lo, 7, v9
	s_and_b32 exec_lo, exec_lo, vcc_lo
	s_cbranch_execz .LBB4_930
; %bb.928:                              ;   in Loop: Header=BB4_800 Depth=3
	v_add_nc_u32_e32 v8, v10, v8
	s_mov_b32 s18, 0
	v_ashrrev_i32_e32 v10, 31, v8
	.p2align	6
.LBB4_929:                              ;   Parent Loop BB4_47 Depth=1
                                        ;     Parent Loop BB4_797 Depth=2
                                        ;       Parent Loop BB4_800 Depth=3
                                        ; =>      This Inner Loop Header: Depth=4
	v_add_co_u32 v68, vcc_lo, v64, v8
	v_add_co_ci_u32_e64 v69, null, v65, v10, vcc_lo
	v_sub_nc_u32_e32 v9, v9, v103
	v_add_co_u32 v70, vcc_lo, v66, v8
	flat_load_dwordx2 v[68:69], v[68:69] slc
	v_add_co_ci_u32_e64 v71, null, v67, v10, vcc_lo
	v_cmp_gt_i32_e32 vcc_lo, 8, v9
	v_add_co_u32 v8, s16, v8, v103
	v_add_co_ci_u32_e64 v10, null, 0, v10, s16
	s_or_b32 s18, vcc_lo, s18
	s_waitcnt vmcnt(0) lgkmcnt(0)
	flat_store_dwordx2 v[70:71], v[68:69] glc slc
	s_andn2_b32 exec_lo, exec_lo, s18
	s_cbranch_execnz .LBB4_929
.LBB4_930:                              ;   in Loop: Header=BB4_800 Depth=3
	s_or_b32 exec_lo, exec_lo, s17
.LBB4_931:                              ;   in Loop: Header=BB4_800 Depth=3
	v_cmp_lt_i32_e64 s16, 0, v2
	s_and_saveexec_b32 s17, s6
	s_cbranch_execz .LBB4_876
.LBB4_932:                              ;   in Loop: Header=BB4_800 Depth=3
	s_and_saveexec_b32 s18, s42
	s_xor_b32 s18, exec_lo, s18
	s_cbranch_execz .LBB4_947
; %bb.933:                              ;   in Loop: Header=BB4_800 Depth=3
	s_and_saveexec_b32 s19, s11
	s_cbranch_execz .LBB4_946
; %bb.934:                              ;   in Loop: Header=BB4_800 Depth=3
	s_mov_b32 s21, exec_lo
	s_mov_b32 s20, exec_lo
	v_mbcnt_lo_u32_b32 v2, s21, 0
	s_waitcnt vmcnt(0) lgkmcnt(0)
	s_waitcnt_vscnt null, 0x0
	buffer_gl1_inv
	buffer_gl0_inv
	v_cmpx_eq_u32_e32 0, v2
	s_cbranch_execz .LBB4_936
; %bb.935:                              ;   in Loop: Header=BB4_800 Depth=3
	s_bcnt1_i32_b32 s21, s21
	v_mov_b32_e32 v2, s21
	ds_add_u64 v0, v[2:3]
	s_trap 2
.LBB4_936:                              ;   in Loop: Header=BB4_800 Depth=3
	s_or_b32 exec_lo, exec_lo, s20
	s_trap 2
	ds_read_b64 v[8:9], v0
	s_waitcnt lgkmcnt(0)
	buffer_gl0_inv
	v_add_co_u32 v12, vcc_lo, v12, v87
	v_add_co_ci_u32_e64 v13, null, 0, v13, vcc_lo
	s_mov_b32 s20, exec_lo
	v_cmpx_lt_u64_e64 v[8:9], v[12:13]
	s_cbranch_execz .LBB4_945
; %bb.937:                              ;   in Loop: Header=BB4_800 Depth=3
	s_mov_b32 s21, 0
	s_mov_b32 s77, 0
                                        ; implicit-def: $sgpr75
                                        ; implicit-def: $sgpr76
	s_inst_prefetch 0x1
	s_branch .LBB4_939
	.p2align	6
.LBB4_938:                              ;   in Loop: Header=BB4_939 Depth=4
	s_or_b32 exec_lo, exec_lo, s79
	s_and_b32 s78, exec_lo, s88
	s_or_b32 s21, s78, s21
	s_andn2_b32 s75, s75, exec_lo
	s_and_b32 s78, s76, exec_lo
	s_or_b32 s75, s75, s78
	s_andn2_b32 exec_lo, exec_lo, s21
	s_cbranch_execz .LBB4_943
.LBB4_939:                              ;   Parent Loop BB4_47 Depth=1
                                        ;     Parent Loop BB4_797 Depth=2
                                        ;       Parent Loop BB4_800 Depth=3
                                        ; =>      This Inner Loop Header: Depth=4
	s_add_i32 s77, s77, 1
	s_cmpk_lg_i32 s77, 0x2710
	s_cselect_b32 s78, -1, 0
	s_and_b32 vcc_lo, exec_lo, s78
	s_cbranch_vccz .LBB4_941
; %bb.940:                              ;   in Loop: Header=BB4_939 Depth=4
	s_mov_b32 s88, -1
	s_or_b32 s76, s76, exec_lo
	s_and_saveexec_b32 s79, s78
	s_cbranch_execz .LBB4_938
	s_branch .LBB4_942
	.p2align	6
.LBB4_941:                              ;   in Loop: Header=BB4_939 Depth=4
	s_trap 2
	ds_read_b64 v[8:9], v0
	s_andn2_b32 s78, s78, exec_lo
	s_mov_b32 s77, 0
	s_waitcnt lgkmcnt(0)
	flat_load_dword v2, v[8:9] glc dlc
	s_waitcnt vmcnt(0) lgkmcnt(0)
	buffer_gl1_inv
	buffer_gl0_inv
	v_cmp_eq_u32_e32 vcc_lo, 0, v2
	s_and_b32 s79, vcc_lo, exec_lo
	s_or_b32 s78, s78, s79
	s_mov_b32 s88, -1
	s_or_b32 s76, s76, exec_lo
	s_and_saveexec_b32 s79, s78
	s_cbranch_execz .LBB4_938
.LBB4_942:                              ;   in Loop: Header=BB4_939 Depth=4
	s_sleep 1
	s_trap 2
	ds_read_b64 v[8:9], v0
	s_waitcnt lgkmcnt(0)
	buffer_gl0_inv
	s_andn2_b32 s76, s76, exec_lo
	v_cmp_ge_u64_e32 vcc_lo, v[8:9], v[12:13]
	s_orn2_b32 s88, vcc_lo, exec_lo
	s_branch .LBB4_938
.LBB4_943:                              ;   in Loop: Header=BB4_800 Depth=3
	s_inst_prefetch 0x2
	s_or_b32 exec_lo, exec_lo, s21
	s_and_saveexec_b32 s21, s75
	s_xor_b32 s21, exec_lo, s21
	s_cbranch_execz .LBB4_945
; %bb.944:                              ;   in Loop: Header=BB4_800 Depth=3
	ds_write_b32 v0, v98
	s_trap 2
.LBB4_945:                              ;   in Loop: Header=BB4_800 Depth=3
	s_or_b32 exec_lo, exec_lo, s20
	;;#ASMSTART
	s_wakeup
	;;#ASMEND
.LBB4_946:                              ;   in Loop: Header=BB4_800 Depth=3
	s_or_b32 exec_lo, exec_lo, s19
.LBB4_947:                              ;   in Loop: Header=BB4_800 Depth=3
	s_andn2_saveexec_b32 s18, s18
	s_cbranch_execz .LBB4_949
; %bb.948:                              ;   in Loop: Header=BB4_800 Depth=3
	s_waitcnt vmcnt(0) lgkmcnt(0)
	s_waitcnt_vscnt null, 0x0
	buffer_gl1_inv
	buffer_gl0_inv
	s_barrier
.LBB4_949:                              ;   in Loop: Header=BB4_800 Depth=3
	s_or_b32 exec_lo, exec_lo, s18
	s_or_b32 exec_lo, exec_lo, s17
                                        ; implicit-def: $vgpr2
	s_and_saveexec_b32 s17, s15
	s_xor_b32 s17, exec_lo, s17
	s_cbranch_execnz .LBB4_877
.LBB4_950:                              ;   in Loop: Header=BB4_800 Depth=3
	s_andn2_saveexec_b32 s16, s17
	s_cbranch_execz .LBB4_969
.LBB4_951:                              ;   in Loop: Header=BB4_800 Depth=3
	s_and_saveexec_b32 s17, s42
	s_xor_b32 s17, exec_lo, s17
	s_cbranch_execz .LBB4_966
; %bb.952:                              ;   in Loop: Header=BB4_800 Depth=3
	s_and_saveexec_b32 s18, s11
	s_cbranch_execz .LBB4_965
; %bb.953:                              ;   in Loop: Header=BB4_800 Depth=3
	s_mov_b32 s20, exec_lo
	s_mov_b32 s19, exec_lo
	v_mbcnt_lo_u32_b32 v2, s20, 0
	;;#ASMSTART
	s_waitcnt lgkmcnt(0) vmcnt(0)
	;;#ASMEND
	v_cmpx_eq_u32_e32 0, v2
	s_cbranch_execz .LBB4_955
; %bb.954:                              ;   in Loop: Header=BB4_800 Depth=3
	s_bcnt1_i32_b32 s20, s20
	v_mov_b32_e32 v2, s20
	s_waitcnt vmcnt(0) lgkmcnt(0)
	s_waitcnt_vscnt null, 0x0
	ds_add_u64 v0, v[2:3]
	s_trap 2
.LBB4_955:                              ;   in Loop: Header=BB4_800 Depth=3
	s_or_b32 exec_lo, exec_lo, s19
	s_trap 2
	ds_read_b64 v[8:9], v0
	s_waitcnt vmcnt(0) lgkmcnt(0)
	buffer_gl0_inv
	v_add_co_u32 v12, vcc_lo, v12, v87
	v_add_co_ci_u32_e64 v13, null, 0, v13, vcc_lo
	s_mov_b32 s19, exec_lo
	v_cmpx_lt_u64_e64 v[8:9], v[12:13]
	s_cbranch_execz .LBB4_964
; %bb.956:                              ;   in Loop: Header=BB4_800 Depth=3
	s_mov_b32 s20, 0
	s_mov_b32 s76, 0
                                        ; implicit-def: $sgpr21
                                        ; implicit-def: $sgpr75
	s_inst_prefetch 0x1
	s_branch .LBB4_958
	.p2align	6
.LBB4_957:                              ;   in Loop: Header=BB4_958 Depth=4
	s_or_b32 exec_lo, exec_lo, s78
	s_and_b32 s77, exec_lo, s79
	s_or_b32 s20, s77, s20
	s_andn2_b32 s21, s21, exec_lo
	s_and_b32 s77, s75, exec_lo
	s_or_b32 s21, s21, s77
	s_andn2_b32 exec_lo, exec_lo, s20
	s_cbranch_execz .LBB4_962
.LBB4_958:                              ;   Parent Loop BB4_47 Depth=1
                                        ;     Parent Loop BB4_797 Depth=2
                                        ;       Parent Loop BB4_800 Depth=3
                                        ; =>      This Inner Loop Header: Depth=4
	s_add_i32 s76, s76, 1
	s_cmpk_lg_i32 s76, 0x2710
	s_cselect_b32 s77, -1, 0
	s_and_b32 vcc_lo, exec_lo, s77
	s_cbranch_vccz .LBB4_960
; %bb.959:                              ;   in Loop: Header=BB4_958 Depth=4
	s_mov_b32 s79, -1
	s_or_b32 s75, s75, exec_lo
	s_and_saveexec_b32 s78, s77
	s_cbranch_execz .LBB4_957
	s_branch .LBB4_961
	.p2align	6
.LBB4_960:                              ;   in Loop: Header=BB4_958 Depth=4
	s_trap 2
	ds_read_b64 v[8:9], v0
	s_andn2_b32 s77, s77, exec_lo
	s_mov_b32 s76, 0
	s_waitcnt lgkmcnt(0)
	s_waitcnt_vscnt null, 0x0
	flat_load_dword v2, v[8:9] glc dlc
	s_waitcnt vmcnt(0) lgkmcnt(0)
	buffer_gl1_inv
	buffer_gl0_inv
	v_cmp_eq_u32_e32 vcc_lo, 0, v2
	s_and_b32 s78, vcc_lo, exec_lo
	s_or_b32 s77, s77, s78
	s_mov_b32 s79, -1
	s_or_b32 s75, s75, exec_lo
	s_and_saveexec_b32 s78, s77
	s_cbranch_execz .LBB4_957
.LBB4_961:                              ;   in Loop: Header=BB4_958 Depth=4
	s_sleep 1
	s_trap 2
	ds_read_b64 v[8:9], v0
	s_waitcnt lgkmcnt(0)
	buffer_gl0_inv
	s_andn2_b32 s75, s75, exec_lo
	v_cmp_ge_u64_e32 vcc_lo, v[8:9], v[12:13]
	s_orn2_b32 s79, vcc_lo, exec_lo
	s_branch .LBB4_957
.LBB4_962:                              ;   in Loop: Header=BB4_800 Depth=3
	s_inst_prefetch 0x2
	s_or_b32 exec_lo, exec_lo, s20
	s_and_saveexec_b32 s20, s21
	s_xor_b32 s20, exec_lo, s20
	s_cbranch_execz .LBB4_964
; %bb.963:                              ;   in Loop: Header=BB4_800 Depth=3
	ds_write_b32 v0, v98
	s_trap 2
.LBB4_964:                              ;   in Loop: Header=BB4_800 Depth=3
	s_or_b32 exec_lo, exec_lo, s19
	;;#ASMSTART
	s_wakeup
	;;#ASMEND
.LBB4_965:                              ;   in Loop: Header=BB4_800 Depth=3
	s_or_b32 exec_lo, exec_lo, s18
.LBB4_966:                              ;   in Loop: Header=BB4_800 Depth=3
	s_andn2_saveexec_b32 s17, s17
	s_cbranch_execz .LBB4_968
; %bb.967:                              ;   in Loop: Header=BB4_800 Depth=3
	;;#ASMSTART
	s_waitcnt lgkmcnt(0) vmcnt(0)
	;;#ASMEND
	s_barrier
.LBB4_968:                              ;   in Loop: Header=BB4_800 Depth=3
	s_or_b32 exec_lo, exec_lo, s17
	v_and_b32_e32 v2, 16, v85
.LBB4_969:                              ;   in Loop: Header=BB4_800 Depth=3
	s_or_b32 exec_lo, exec_lo, s16
	v_cmp_ne_u32_e32 vcc_lo, 0, v2
	s_xor_b32 s16, s7, -1
	s_and_b32 s17, vcc_lo, s16
	s_and_saveexec_b32 s16, s17
	s_cbranch_execz .LBB4_971
; %bb.970:                              ;   in Loop: Header=BB4_800 Depth=3
	s_waitcnt vmcnt(0) lgkmcnt(0)
	s_waitcnt_vscnt null, 0x0
	flat_store_dword v[24:25], v98
.LBB4_971:                              ;   in Loop: Header=BB4_800 Depth=3
	s_or_b32 exec_lo, exec_lo, s16
	v_and_b32_e32 v2, 48, v85
	s_mov_b32 s16, exec_lo
	v_cmpx_ne_u32_e32 0, v2
	s_cbranch_execz .LBB4_799
; %bb.972:                              ;   in Loop: Header=BB4_800 Depth=3
	v_add_co_u32 v36, vcc_lo, v36, 2
	v_add_co_ci_u32_e64 v37, null, 0, v37, vcc_lo
	s_waitcnt vmcnt(0) lgkmcnt(0)
	s_waitcnt_vscnt null, 0x0
	flat_store_dwordx2 v[20:21], v[36:37]
	s_branch .LBB4_799
.LBB4_973:                              ;   in Loop: Header=BB4_797 Depth=2
	s_or_b32 exec_lo, exec_lo, s27
.LBB4_974:                              ;   in Loop: Header=BB4_797 Depth=2
	s_or_b32 exec_lo, exec_lo, s24
	s_mov_b32 s17, exec_lo
	v_cmpx_gt_i32_e32 2, v2
	s_cbranch_execz .LBB4_1050
; %bb.975:                              ;   in Loop: Header=BB4_797 Depth=2
	v_cmp_eq_u32_e64 s19, 0, v2
	s_mov_b32 s18, 0
	s_branch .LBB4_977
.LBB4_976:                              ;   in Loop: Header=BB4_977 Depth=3
	s_or_b32 exec_lo, exec_lo, s16
	v_add_nc_u32_e32 v52, v50, v52
	s_mov_b32 s19, 0
	s_andn2_b32 exec_lo, exec_lo, s18
	s_cbranch_execz .LBB4_1049
.LBB4_977:                              ;   Parent Loop BB4_47 Depth=1
                                        ;     Parent Loop BB4_797 Depth=2
                                        ; =>    This Loop Header: Depth=3
                                        ;         Child Loop BB4_983 Depth 4
                                        ;         Child Loop BB4_1011 Depth 4
	;; [unrolled: 1-line block ×3, first 2 shown]
	v_sub_nc_u32_e32 v2, v80, v52
	v_and_b32_e32 v8, 12, v85
	s_mov_b32 s20, exec_lo
	v_min_i32_e32 v50, v50, v2
	v_cmpx_ne_u32_e32 0, v8
	s_cbranch_execz .LBB4_1003
; %bb.978:                              ;   in Loop: Header=BB4_977 Depth=3
	v_and_b32_e32 v2, 8, v85
	s_mov_b32 s21, exec_lo
	s_waitcnt vmcnt(0) lgkmcnt(1)
	v_add_co_u32 v10, vcc_lo, v26, v2
	v_add_co_ci_u32_e64 v11, null, 0, v27, vcc_lo
	v_add_co_u32 v8, vcc_lo, v36, 2
	v_add_co_ci_u32_e64 v9, null, 0, v37, vcc_lo
	v_cmpx_lt_u64_e64 v[10:11], v[8:9]
	s_cbranch_execz .LBB4_990
; %bb.979:                              ;   in Loop: Header=BB4_977 Depth=3
	v_and_b32_e32 v10, 64, v85
	s_mov_b32 s24, 0
	s_mov_b32 s75, 0
                                        ; implicit-def: $sgpr27
                                        ; implicit-def: $sgpr73
                                        ; implicit-def: $sgpr74
	v_cmp_eq_u32_e32 vcc_lo, 0, v10
	s_branch .LBB4_983
.LBB4_980:                              ;   in Loop: Header=BB4_983 Depth=4
	s_waitcnt vmcnt(0) lgkmcnt(0)
	v_add_co_u32 v53, s16, v26, v2
	v_add_co_ci_u32_e64 v54, null, 0, v27, s16
	s_or_b32 s78, s78, exec_lo
	v_cmp_ge_u64_e64 s16, v[53:54], v[8:9]
	s_orn2_b32 s77, s16, exec_lo
.LBB4_981:                              ;   in Loop: Header=BB4_983 Depth=4
	s_or_b32 exec_lo, exec_lo, s88
	s_andn2_b32 s16, s74, exec_lo
	s_and_b32 s74, s78, exec_lo
	s_andn2_b32 s73, s73, exec_lo
	s_and_b32 s77, s77, exec_lo
	s_or_b32 s74, s16, s74
	s_or_b32 s73, s73, s77
.LBB4_982:                              ;   in Loop: Header=BB4_983 Depth=4
	s_or_b32 exec_lo, exec_lo, s76
	s_and_b32 s16, exec_lo, s73
	s_or_b32 s24, s16, s24
	s_andn2_b32 s16, s27, exec_lo
	s_and_b32 s27, s74, exec_lo
	s_or_b32 s27, s16, s27
	s_andn2_b32 exec_lo, exec_lo, s24
	s_cbranch_execz .LBB4_987
.LBB4_983:                              ;   Parent Loop BB4_47 Depth=1
                                        ;     Parent Loop BB4_797 Depth=2
                                        ;       Parent Loop BB4_977 Depth=3
                                        ; =>      This Inner Loop Header: Depth=4
	s_sleep 1
	s_waitcnt vmcnt(0) lgkmcnt(0)
	flat_load_dwordx2 v[26:27], v[20:21] glc dlc
	s_or_b32 s74, s74, exec_lo
	s_or_b32 s73, s73, exec_lo
                                        ; implicit-def: $vgpr10
	s_and_saveexec_b32 s76, vcc_lo
	s_cbranch_execz .LBB4_982
; %bb.984:                              ;   in Loop: Header=BB4_983 Depth=4
	s_cmpk_lt_i32 s75, 0x270f
	s_mov_b32 s77, -1
	s_cselect_b32 s79, -1, 0
	s_cmpk_gt_i32 s75, 0x270e
	s_cbranch_scc0 .LBB4_986
; %bb.985:                              ;   in Loop: Header=BB4_983 Depth=4
	s_trap 2
	ds_read_b64 v[10:11], v0
	s_andn2_b32 s75, s79, exec_lo
	s_mov_b32 s78, 0
	s_waitcnt vmcnt(0) lgkmcnt(0)
	s_waitcnt_vscnt null, 0x0
	flat_load_dword v10, v[10:11] glc dlc
	s_waitcnt vmcnt(0) lgkmcnt(0)
	buffer_gl1_inv
	buffer_gl0_inv
	v_cmp_eq_u32_e64 s16, 0, v10
	s_and_b32 s16, s16, exec_lo
	s_or_b32 s79, s75, s16
	s_mov_b32 s75, 0
	s_and_saveexec_b32 s88, s79
	s_cbranch_execz .LBB4_981
	s_branch .LBB4_980
.LBB4_986:                              ;   in Loop: Header=BB4_983 Depth=4
	s_add_i32 s75, s75, 1
	s_mov_b32 s78, -1
                                        ; implicit-def: $vgpr10
	s_and_saveexec_b32 s88, s79
	s_cbranch_execz .LBB4_981
	s_branch .LBB4_980
.LBB4_987:                              ;   in Loop: Header=BB4_977 Depth=3
	s_or_b32 exec_lo, exec_lo, s24
	s_xor_b32 s16, s27, -1
	s_and_saveexec_b32 s24, s16
	s_xor_b32 s16, exec_lo, s24
	s_cbranch_execz .LBB4_989
; %bb.988:                              ;   in Loop: Header=BB4_977 Depth=3
	v_or_b32_e32 v85, 64, v85
	s_waitcnt vmcnt(0) lgkmcnt(0)
	s_waitcnt_vscnt null, 0x0
	ds_write_b32 v0, v10
	s_trap 2
.LBB4_989:                              ;   in Loop: Header=BB4_977 Depth=3
	s_or_b32 exec_lo, exec_lo, s16
.LBB4_990:                              ;   in Loop: Header=BB4_977 Depth=3
	s_or_b32 exec_lo, exec_lo, s21
	v_and_b32_e32 v10, 0x108, v85
	s_mov_b32 s16, exec_lo
	;;#ASMSTART
	s_wakeup
	;;#ASMEND
	v_cmpx_ne_u32_e32 0x108, v10
	s_xor_b32 s16, exec_lo, s16
                                        ; implicit-def: $vgpr53
; %bb.991:                              ;   in Loop: Header=BB4_977 Depth=3
	v_and_b32_e32 v53, 7, v36
                                        ; implicit-def: $vgpr36_vgpr37
; %bb.992:                              ;   in Loop: Header=BB4_977 Depth=3
	s_andn2_saveexec_b32 s16, s16
	s_cbranch_execz .LBB4_994
; %bb.993:                              ;   in Loop: Header=BB4_977 Depth=3
	v_and_b32_e32 v53, 7, v36
	v_ashrrev_i32_e32 v51, 31, v50
	v_mad_u64_u32 v[10:11], null, v53, 24, v[6:7]
	v_lshlrev_b64 v[36:37], 3, v[50:51]
	flat_store_dwordx2 v[10:11], v[36:37] offset:8
.LBB4_994:                              ;   in Loop: Header=BB4_977 Depth=3
	s_or_b32 exec_lo, exec_lo, s16
	v_and_b32_e32 v10, 0x100, v85
	s_mov_b32 s16, -1
	v_cmp_ne_u32_e32 vcc_lo, 0, v10
                                        ; implicit-def: $vgpr10_vgpr11
	s_and_saveexec_b32 s21, vcc_lo
	s_cbranch_execz .LBB4_998
; %bb.995:                              ;   in Loop: Header=BB4_977 Depth=3
	v_mad_u64_u32 v[36:37], null, v53, 24, v[6:7]
	v_mov_b32_e32 v10, v37
	v_mad_u64_u32 v[10:11], null, v3, 24, v[10:11]
	v_mov_b32_e32 v37, v10
	flat_load_dword v10, v[36:37]
	s_waitcnt vmcnt(0) lgkmcnt(0)
	v_cmp_eq_u32_e64 s16, 1, v10
	v_cmp_ne_u32_e32 vcc_lo, 1, v10
                                        ; implicit-def: $vgpr10_vgpr11
	s_and_saveexec_b32 s24, s16
	s_cbranch_execz .LBB4_997
; %bb.996:                              ;   in Loop: Header=BB4_977 Depth=3
	flat_load_dword v10, v[36:37] offset:4 glc dlc
	s_waitcnt vmcnt(0) lgkmcnt(0)
	v_ashrrev_i32_e32 v11, 31, v10
	v_lshrrev_b64 v[10:11], 3, v[10:11]
.LBB4_997:                              ;   in Loop: Header=BB4_977 Depth=3
	s_or_b32 exec_lo, exec_lo, s24
	s_orn2_b32 s16, vcc_lo, exec_lo
.LBB4_998:                              ;   in Loop: Header=BB4_977 Depth=3
	s_or_b32 exec_lo, exec_lo, s21
	s_and_saveexec_b32 s21, s16
; %bb.999:                              ;   in Loop: Header=BB4_977 Depth=3
	v_mul_lo_u32 v36, v3, v86
	v_mul_lo_u32 v37, v53, v30
	v_mad_u64_u32 v[10:11], null, v53, v86, 0
	v_add3_u32 v11, v11, v37, v36
; %bb.1000:                             ;   in Loop: Header=BB4_977 Depth=3
	s_or_b32 exec_lo, exec_lo, s21
	v_cmp_eq_u32_e32 vcc_lo, 0, v2
	v_lshlrev_b64 v[10:11], 3, v[10:11]
	v_and_b32_e32 v36, 0x2000, v85
	s_mov_b32 s16, exec_lo
	v_cndmask_b32_e32 v2, 0xd0, v100, vcc_lo
	v_add_co_u32 v10, vcc_lo, v22, v10
	v_add_co_ci_u32_e64 v11, null, v23, v11, vcc_lo
	v_add_nc_u32_e32 v2, v0, v2
	ds_write_b64 v2, v[10:11] offset:584
	v_cmpx_ne_u32_e32 0, v36
	s_cbranch_execz .LBB4_1002
; %bb.1001:                             ;   in Loop: Header=BB4_977 Depth=3
	ds_read_b64 v[10:11], v0 offset:872
	s_waitcnt lgkmcnt(0)
	v_add_co_u32 v10, vcc_lo, v10, 1
	v_add_co_ci_u32_e64 v11, null, 0, v11, vcc_lo
	ds_write_b64 v0, v[10:11] offset:872
.LBB4_1002:                             ;   in Loop: Header=BB4_977 Depth=3
	s_or_b32 exec_lo, exec_lo, s16
	v_mov_b32_e32 v37, v9
	v_mov_b32_e32 v36, v8
.LBB4_1003:                             ;   in Loop: Header=BB4_977 Depth=3
	s_or_b32 exec_lo, exec_lo, s20
	s_xor_b32 s16, s19, -1
	s_and_b32 s16, exec_lo, s16
	s_or_b32 s18, s16, s18
	s_and_saveexec_b32 s16, s6
	s_cbranch_execz .LBB4_1022
; %bb.1004:                             ;   in Loop: Header=BB4_977 Depth=3
	s_and_saveexec_b32 s19, s42
	s_xor_b32 s19, exec_lo, s19
	s_cbranch_execz .LBB4_1019
; %bb.1005:                             ;   in Loop: Header=BB4_977 Depth=3
	s_and_saveexec_b32 s20, s11
	s_cbranch_execz .LBB4_1018
; %bb.1006:                             ;   in Loop: Header=BB4_977 Depth=3
	s_mov_b32 s24, exec_lo
	s_mov_b32 s21, exec_lo
	v_mbcnt_lo_u32_b32 v2, s24, 0
	s_waitcnt vmcnt(0) lgkmcnt(0)
	s_waitcnt_vscnt null, 0x0
	buffer_gl1_inv
	buffer_gl0_inv
	v_cmpx_eq_u32_e32 0, v2
	s_cbranch_execz .LBB4_1008
; %bb.1007:                             ;   in Loop: Header=BB4_977 Depth=3
	s_bcnt1_i32_b32 s24, s24
	v_mov_b32_e32 v2, s24
	ds_add_u64 v0, v[2:3]
	s_trap 2
.LBB4_1008:                             ;   in Loop: Header=BB4_977 Depth=3
	s_or_b32 exec_lo, exec_lo, s21
	s_trap 2
	ds_read_b64 v[8:9], v0
	s_waitcnt lgkmcnt(0)
	buffer_gl0_inv
	v_add_co_u32 v12, vcc_lo, v12, v87
	v_add_co_ci_u32_e64 v13, null, 0, v13, vcc_lo
	s_mov_b32 s21, exec_lo
	v_cmpx_lt_u64_e64 v[8:9], v[12:13]
	s_cbranch_execz .LBB4_1017
; %bb.1009:                             ;   in Loop: Header=BB4_977 Depth=3
	s_mov_b32 s24, 0
	s_mov_b32 s74, 0
                                        ; implicit-def: $sgpr27
                                        ; implicit-def: $sgpr73
	s_inst_prefetch 0x1
	s_branch .LBB4_1011
	.p2align	6
.LBB4_1010:                             ;   in Loop: Header=BB4_1011 Depth=4
	s_or_b32 exec_lo, exec_lo, s76
	s_and_b32 s75, exec_lo, s77
	s_or_b32 s24, s75, s24
	s_andn2_b32 s27, s27, exec_lo
	s_and_b32 s75, s73, exec_lo
	s_or_b32 s27, s27, s75
	s_andn2_b32 exec_lo, exec_lo, s24
	s_cbranch_execz .LBB4_1015
.LBB4_1011:                             ;   Parent Loop BB4_47 Depth=1
                                        ;     Parent Loop BB4_797 Depth=2
                                        ;       Parent Loop BB4_977 Depth=3
                                        ; =>      This Inner Loop Header: Depth=4
	s_add_i32 s74, s74, 1
	s_cmpk_lg_i32 s74, 0x2710
	s_cselect_b32 s75, -1, 0
	s_and_b32 vcc_lo, exec_lo, s75
	s_cbranch_vccz .LBB4_1013
; %bb.1012:                             ;   in Loop: Header=BB4_1011 Depth=4
	s_mov_b32 s77, -1
	s_or_b32 s73, s73, exec_lo
	s_and_saveexec_b32 s76, s75
	s_cbranch_execz .LBB4_1010
	s_branch .LBB4_1014
	.p2align	6
.LBB4_1013:                             ;   in Loop: Header=BB4_1011 Depth=4
	s_trap 2
	ds_read_b64 v[8:9], v0
	s_andn2_b32 s75, s75, exec_lo
	s_mov_b32 s74, 0
	s_waitcnt lgkmcnt(0)
	flat_load_dword v2, v[8:9] glc dlc
	s_waitcnt vmcnt(0) lgkmcnt(0)
	buffer_gl1_inv
	buffer_gl0_inv
	v_cmp_eq_u32_e32 vcc_lo, 0, v2
	s_and_b32 s76, vcc_lo, exec_lo
	s_or_b32 s75, s75, s76
	s_mov_b32 s77, -1
	s_or_b32 s73, s73, exec_lo
	s_and_saveexec_b32 s76, s75
	s_cbranch_execz .LBB4_1010
.LBB4_1014:                             ;   in Loop: Header=BB4_1011 Depth=4
	s_sleep 1
	s_trap 2
	ds_read_b64 v[8:9], v0
	s_waitcnt lgkmcnt(0)
	buffer_gl0_inv
	s_andn2_b32 s73, s73, exec_lo
	v_cmp_ge_u64_e32 vcc_lo, v[8:9], v[12:13]
	s_orn2_b32 s77, vcc_lo, exec_lo
	s_branch .LBB4_1010
.LBB4_1015:                             ;   in Loop: Header=BB4_977 Depth=3
	s_inst_prefetch 0x2
	s_or_b32 exec_lo, exec_lo, s24
	s_and_saveexec_b32 s24, s27
	s_xor_b32 s24, exec_lo, s24
	s_cbranch_execz .LBB4_1017
; %bb.1016:                             ;   in Loop: Header=BB4_977 Depth=3
	ds_write_b32 v0, v98
	s_trap 2
.LBB4_1017:                             ;   in Loop: Header=BB4_977 Depth=3
	s_or_b32 exec_lo, exec_lo, s21
	;;#ASMSTART
	s_wakeup
	;;#ASMEND
.LBB4_1018:                             ;   in Loop: Header=BB4_977 Depth=3
	s_or_b32 exec_lo, exec_lo, s20
.LBB4_1019:                             ;   in Loop: Header=BB4_977 Depth=3
	s_andn2_saveexec_b32 s19, s19
	s_cbranch_execz .LBB4_1021
; %bb.1020:                             ;   in Loop: Header=BB4_977 Depth=3
	s_waitcnt vmcnt(0) lgkmcnt(0)
	s_waitcnt_vscnt null, 0x0
	buffer_gl1_inv
	buffer_gl0_inv
	s_barrier
.LBB4_1021:                             ;   in Loop: Header=BB4_977 Depth=3
	s_or_b32 exec_lo, exec_lo, s19
.LBB4_1022:                             ;   in Loop: Header=BB4_977 Depth=3
	s_or_b32 exec_lo, exec_lo, s16
                                        ; implicit-def: $vgpr2
	s_and_saveexec_b32 s16, s15
	s_xor_b32 s19, exec_lo, s16
	s_cbranch_execz .LBB4_1026
; %bb.1023:                             ;   in Loop: Header=BB4_977 Depth=3
	s_trap 2
	ds_read_b32 v2, v0
	v_cmp_lt_i32_e32 vcc_lo, 0, v50
	s_waitcnt lgkmcnt(0)
	v_readfirstlane_b32 s16, v2
	v_and_b32_e32 v2, 16, v85
	s_cmp_eq_u32 s16, 0
	v_cmp_ne_u32_e64 s16, 0, v2
	s_cselect_b32 s20, -1, 0
	v_and_b32_e32 v2, 16, v85
	s_and_b32 s20, vcc_lo, s20
	s_and_b32 s20, s16, s20
	s_and_saveexec_b32 s16, s20
	s_cbranch_execz .LBB4_1025
; %bb.1024:                             ;   in Loop: Header=BB4_977 Depth=3
	v_mov_b32_e32 v2, 1
	s_waitcnt vmcnt(0)
	s_waitcnt_vscnt null, 0x0
	buffer_gl1_inv
	buffer_gl0_inv
.LBB4_1025:                             ;   in Loop: Header=BB4_977 Depth=3
	s_or_b32 exec_lo, exec_lo, s16
	s_andn2_saveexec_b32 s16, s19
	s_cbranch_execz .LBB4_1045
	s_branch .LBB4_1027
.LBB4_1026:                             ;   in Loop: Header=BB4_977 Depth=3
	s_andn2_saveexec_b32 s16, s19
	s_cbranch_execz .LBB4_1045
.LBB4_1027:                             ;   in Loop: Header=BB4_977 Depth=3
	s_and_saveexec_b32 s19, s42
	s_xor_b32 s19, exec_lo, s19
	s_cbranch_execz .LBB4_1042
; %bb.1028:                             ;   in Loop: Header=BB4_977 Depth=3
	s_and_saveexec_b32 s20, s11
	s_cbranch_execz .LBB4_1041
; %bb.1029:                             ;   in Loop: Header=BB4_977 Depth=3
	s_mov_b32 s24, exec_lo
	s_mov_b32 s21, exec_lo
	v_mbcnt_lo_u32_b32 v2, s24, 0
	;;#ASMSTART
	s_waitcnt lgkmcnt(0) vmcnt(0)
	;;#ASMEND
	v_cmpx_eq_u32_e32 0, v2
	s_cbranch_execz .LBB4_1031
; %bb.1030:                             ;   in Loop: Header=BB4_977 Depth=3
	s_bcnt1_i32_b32 s24, s24
	v_mov_b32_e32 v2, s24
	s_waitcnt vmcnt(0) lgkmcnt(0)
	s_waitcnt_vscnt null, 0x0
	ds_add_u64 v0, v[2:3]
	s_trap 2
.LBB4_1031:                             ;   in Loop: Header=BB4_977 Depth=3
	s_or_b32 exec_lo, exec_lo, s21
	s_trap 2
	ds_read_b64 v[8:9], v0
	s_waitcnt vmcnt(0) lgkmcnt(0)
	buffer_gl0_inv
	v_add_co_u32 v12, vcc_lo, v12, v87
	v_add_co_ci_u32_e64 v13, null, 0, v13, vcc_lo
	s_mov_b32 s21, exec_lo
	v_cmpx_lt_u64_e64 v[8:9], v[12:13]
	s_cbranch_execz .LBB4_1040
; %bb.1032:                             ;   in Loop: Header=BB4_977 Depth=3
	s_mov_b32 s24, 0
	s_mov_b32 s74, 0
                                        ; implicit-def: $sgpr27
                                        ; implicit-def: $sgpr73
	s_inst_prefetch 0x1
	s_branch .LBB4_1034
	.p2align	6
.LBB4_1033:                             ;   in Loop: Header=BB4_1034 Depth=4
	s_or_b32 exec_lo, exec_lo, s76
	s_and_b32 s75, exec_lo, s77
	s_or_b32 s24, s75, s24
	s_andn2_b32 s27, s27, exec_lo
	s_and_b32 s75, s73, exec_lo
	s_or_b32 s27, s27, s75
	s_andn2_b32 exec_lo, exec_lo, s24
	s_cbranch_execz .LBB4_1038
.LBB4_1034:                             ;   Parent Loop BB4_47 Depth=1
                                        ;     Parent Loop BB4_797 Depth=2
                                        ;       Parent Loop BB4_977 Depth=3
                                        ; =>      This Inner Loop Header: Depth=4
	s_add_i32 s74, s74, 1
	s_cmpk_lg_i32 s74, 0x2710
	s_cselect_b32 s75, -1, 0
	s_and_b32 vcc_lo, exec_lo, s75
	s_cbranch_vccz .LBB4_1036
; %bb.1035:                             ;   in Loop: Header=BB4_1034 Depth=4
	s_mov_b32 s77, -1
	s_or_b32 s73, s73, exec_lo
	s_and_saveexec_b32 s76, s75
	s_cbranch_execz .LBB4_1033
	s_branch .LBB4_1037
	.p2align	6
.LBB4_1036:                             ;   in Loop: Header=BB4_1034 Depth=4
	s_trap 2
	ds_read_b64 v[8:9], v0
	s_andn2_b32 s75, s75, exec_lo
	s_mov_b32 s74, 0
	s_waitcnt lgkmcnt(0)
	s_waitcnt_vscnt null, 0x0
	flat_load_dword v2, v[8:9] glc dlc
	s_waitcnt vmcnt(0) lgkmcnt(0)
	buffer_gl1_inv
	buffer_gl0_inv
	v_cmp_eq_u32_e32 vcc_lo, 0, v2
	s_and_b32 s76, vcc_lo, exec_lo
	s_or_b32 s75, s75, s76
	s_mov_b32 s77, -1
	s_or_b32 s73, s73, exec_lo
	s_and_saveexec_b32 s76, s75
	s_cbranch_execz .LBB4_1033
.LBB4_1037:                             ;   in Loop: Header=BB4_1034 Depth=4
	s_sleep 1
	s_trap 2
	ds_read_b64 v[8:9], v0
	s_waitcnt lgkmcnt(0)
	buffer_gl0_inv
	s_andn2_b32 s73, s73, exec_lo
	v_cmp_ge_u64_e32 vcc_lo, v[8:9], v[12:13]
	s_orn2_b32 s77, vcc_lo, exec_lo
	s_branch .LBB4_1033
.LBB4_1038:                             ;   in Loop: Header=BB4_977 Depth=3
	s_inst_prefetch 0x2
	s_or_b32 exec_lo, exec_lo, s24
	s_and_saveexec_b32 s24, s27
	s_xor_b32 s24, exec_lo, s24
	s_cbranch_execz .LBB4_1040
; %bb.1039:                             ;   in Loop: Header=BB4_977 Depth=3
	ds_write_b32 v0, v98
	s_trap 2
.LBB4_1040:                             ;   in Loop: Header=BB4_977 Depth=3
	s_or_b32 exec_lo, exec_lo, s21
	;;#ASMSTART
	s_wakeup
	;;#ASMEND
.LBB4_1041:                             ;   in Loop: Header=BB4_977 Depth=3
	s_or_b32 exec_lo, exec_lo, s20
.LBB4_1042:                             ;   in Loop: Header=BB4_977 Depth=3
	s_andn2_saveexec_b32 s19, s19
	s_cbranch_execz .LBB4_1044
; %bb.1043:                             ;   in Loop: Header=BB4_977 Depth=3
	;;#ASMSTART
	s_waitcnt lgkmcnt(0) vmcnt(0)
	;;#ASMEND
	s_barrier
.LBB4_1044:                             ;   in Loop: Header=BB4_977 Depth=3
	s_or_b32 exec_lo, exec_lo, s19
	v_and_b32_e32 v2, 16, v85
.LBB4_1045:                             ;   in Loop: Header=BB4_977 Depth=3
	s_or_b32 exec_lo, exec_lo, s16
	v_cmp_ne_u32_e32 vcc_lo, 0, v2
	s_xor_b32 s16, s7, -1
	s_and_b32 s19, vcc_lo, s16
	s_and_saveexec_b32 s16, s19
	s_cbranch_execz .LBB4_1047
; %bb.1046:                             ;   in Loop: Header=BB4_977 Depth=3
	s_waitcnt vmcnt(0) lgkmcnt(0)
	s_waitcnt_vscnt null, 0x0
	flat_store_dword v[24:25], v98
.LBB4_1047:                             ;   in Loop: Header=BB4_977 Depth=3
	s_or_b32 exec_lo, exec_lo, s16
	v_and_b32_e32 v2, 48, v85
	s_mov_b32 s16, exec_lo
	v_cmpx_ne_u32_e32 0, v2
	s_cbranch_execz .LBB4_976
; %bb.1048:                             ;   in Loop: Header=BB4_977 Depth=3
	v_add_co_u32 v36, vcc_lo, v36, 2
	v_add_co_ci_u32_e64 v37, null, 0, v37, vcc_lo
	s_waitcnt vmcnt(0) lgkmcnt(0)
	s_waitcnt_vscnt null, 0x0
	flat_store_dwordx2 v[20:21], v[36:37]
	s_branch .LBB4_976
.LBB4_1049:                             ;   in Loop: Header=BB4_797 Depth=2
	s_or_b32 exec_lo, exec_lo, s18
.LBB4_1050:                             ;   in Loop: Header=BB4_797 Depth=2
	s_or_b32 exec_lo, exec_lo, s17
	s_add_i32 s16, s22, 1
	s_cmp_eq_u32 s22, s59
	s_cbranch_scc1 .LBB4_1052
; %bb.1051:                             ;   in Loop: Header=BB4_797 Depth=2
	s_mov_b32 s22, s16
	s_branch .LBB4_797
.LBB4_1052:                             ;   in Loop: Header=BB4_47 Depth=1
	v_mul_lo_u32 v2, v35, s61
	v_mul_lo_u32 v8, v34, s72
	v_mad_u64_u32 v[9:10], null, v34, s61, 0
	v_add3_u32 v10, v10, v8, v2
	v_sub_co_u32 v38, vcc_lo, v38, v9
	v_sub_co_ci_u32_e64 v39, null, v39, v10, vcc_lo
	v_cmp_lt_i64_e32 vcc_lo, v[34:35], v[38:39]
	v_cndmask_b32_e32 v8, v38, v34, vcc_lo
	v_max_i32_e32 v54, 0, v8
	v_cmp_lt_i32_e32 vcc_lo, 0, v8
	v_mov_b32_e32 v8, 0
	v_add_nc_u32_e32 v2, 31, v54
	s_and_b32 s16, s60, vcc_lo
	v_lshrrev_b32_e32 v2, 1, v2
	v_and_b32_e32 v11, 0x3ffffff0, v2
	v_mov_b32_e32 v2, 0
	v_max_i32_e32 v55, s56, v11
	s_and_saveexec_b32 s18, s16
	s_cbranch_execz .LBB4_1190
; %bb.1053:                             ;   in Loop: Header=BB4_47 Depth=1
	v_add_co_u32 v8, vcc_lo, v9, v48
	v_add_co_ci_u32_e64 v9, null, v10, v49, vcc_lo
	s_mov_b32 s21, 1
	s_mov_b32 s20, -1
	s_mov_b32 s19, 0
	v_lshlrev_b64 v[10:11], 3, v[8:9]
	v_mov_b32_e32 v8, 0
	s_branch .LBB4_1055
.LBB4_1054:                             ;   in Loop: Header=BB4_1055 Depth=2
	s_or_b32 exec_lo, exec_lo, s16
	v_add_nc_u32_e32 v8, v55, v8
	s_xor_b32 s16, s20, -1
	v_mov_b32_e32 v2, s21
	s_mov_b32 s20, 0
	s_mov_b32 s21, 2
	v_cmp_ge_i32_e32 vcc_lo, v8, v54
	s_or_b32 s16, s16, vcc_lo
	s_and_b32 s16, exec_lo, s16
	s_or_b32 s19, s16, s19
	s_andn2_b32 exec_lo, exec_lo, s19
	s_cbranch_execz .LBB4_1189
.LBB4_1055:                             ;   Parent Loop BB4_47 Depth=1
                                        ; =>  This Loop Header: Depth=2
                                        ;       Child Loop BB4_1063 Depth 3
                                        ;       Child Loop BB4_1087 Depth 3
	;; [unrolled: 1-line block ×9, first 2 shown]
	s_and_saveexec_b32 s17, s4
	s_cbranch_execz .LBB4_1057
; %bb.1056:                             ;   in Loop: Header=BB4_1055 Depth=2
	s_trap 2
	ds_read_b128 v[48:51], v0
	v_ashrrev_i32_e32 v9, 31, v8
	v_lshlrev_b64 v[38:39], 3, v[8:9]
	s_waitcnt lgkmcnt(0)
	v_add_co_u32 v2, vcc_lo, v50, v10
	v_add_co_ci_u32_e64 v9, null, v51, v11, vcc_lo
	v_add_co_u32 v48, vcc_lo, v48, v10
	v_add_co_ci_u32_e64 v49, null, v49, v11, vcc_lo
	;; [unrolled: 2-line block ×3, first 2 shown]
	v_cmp_ne_u64_e32 vcc_lo, 0, v[50:51]
	v_add_co_u32 v38, s16, v48, v38
	v_add_co_ci_u32_e64 v39, null, v49, v39, s16
	v_cndmask_b32_e32 v49, 0, v9, vcc_lo
	v_cndmask_b32_e32 v48, 0, v2, vcc_lo
	ds_write_b64 v0, v[38:39]
	ds_write_b64 v0, v[48:49]
.LBB4_1057:                             ;   in Loop: Header=BB4_1055 Depth=2
	s_or_b32 exec_lo, exec_lo, s17
	v_and_b32_e32 v2, 4, v85
	s_mov_b32 s17, exec_lo
	v_cmpx_ne_u32_e32 0, v2
	s_cbranch_execz .LBB4_1079
; %bb.1058:                             ;   in Loop: Header=BB4_1055 Depth=2
	v_add_co_u32 v38, vcc_lo, v36, 2
	v_add_co_ci_u32_e64 v39, null, 0, v37, vcc_lo
	s_mov_b32 s22, exec_lo
	s_waitcnt vmcnt(0) lgkmcnt(1)
	v_cmpx_lt_u64_e64 v[26:27], v[38:39]
	s_cbranch_execz .LBB4_1070
; %bb.1059:                             ;   in Loop: Header=BB4_1055 Depth=2
	v_and_b32_e32 v2, 64, v85
	s_mov_b32 s24, 0
	s_mov_b32 s75, 0
                                        ; implicit-def: $sgpr27
                                        ; implicit-def: $sgpr73
                                        ; implicit-def: $sgpr74
	v_cmp_eq_u32_e32 vcc_lo, 0, v2
	s_branch .LBB4_1063
.LBB4_1060:                             ;   in Loop: Header=BB4_1063 Depth=3
	s_waitcnt vmcnt(0) lgkmcnt(0)
	v_cmp_ge_u64_e64 s16, v[26:27], v[38:39]
	s_or_b32 s78, s78, exec_lo
	s_orn2_b32 s77, s16, exec_lo
.LBB4_1061:                             ;   in Loop: Header=BB4_1063 Depth=3
	s_or_b32 exec_lo, exec_lo, s88
	s_andn2_b32 s16, s74, exec_lo
	s_and_b32 s74, s78, exec_lo
	s_andn2_b32 s73, s73, exec_lo
	s_and_b32 s77, s77, exec_lo
	s_or_b32 s74, s16, s74
	s_or_b32 s73, s73, s77
.LBB4_1062:                             ;   in Loop: Header=BB4_1063 Depth=3
	s_or_b32 exec_lo, exec_lo, s76
	s_and_b32 s16, exec_lo, s73
	s_or_b32 s24, s16, s24
	s_andn2_b32 s16, s27, exec_lo
	s_and_b32 s27, s74, exec_lo
	s_or_b32 s27, s16, s27
	s_andn2_b32 exec_lo, exec_lo, s24
	s_cbranch_execz .LBB4_1067
.LBB4_1063:                             ;   Parent Loop BB4_47 Depth=1
                                        ;     Parent Loop BB4_1055 Depth=2
                                        ; =>    This Inner Loop Header: Depth=3
	s_sleep 1
	s_waitcnt vmcnt(0) lgkmcnt(0)
	flat_load_dwordx2 v[26:27], v[20:21] glc dlc
	s_or_b32 s74, s74, exec_lo
	s_or_b32 s73, s73, exec_lo
                                        ; implicit-def: $vgpr2
	s_and_saveexec_b32 s76, vcc_lo
	s_cbranch_execz .LBB4_1062
; %bb.1064:                             ;   in Loop: Header=BB4_1063 Depth=3
	s_cmpk_lt_i32 s75, 0x270f
	s_mov_b32 s77, -1
	s_cselect_b32 s79, -1, 0
	s_cmpk_gt_i32 s75, 0x270e
	s_cbranch_scc0 .LBB4_1066
; %bb.1065:                             ;   in Loop: Header=BB4_1063 Depth=3
	s_trap 2
	ds_read_b64 v[48:49], v0
	s_andn2_b32 s75, s79, exec_lo
	s_mov_b32 s78, 0
	s_waitcnt vmcnt(0) lgkmcnt(0)
	s_waitcnt_vscnt null, 0x0
	flat_load_dword v2, v[48:49] glc dlc
	s_waitcnt vmcnt(0) lgkmcnt(0)
	buffer_gl1_inv
	buffer_gl0_inv
	v_cmp_eq_u32_e64 s16, 0, v2
	s_and_b32 s16, s16, exec_lo
	s_or_b32 s79, s75, s16
	s_mov_b32 s75, 0
	s_and_saveexec_b32 s88, s79
	s_cbranch_execz .LBB4_1061
	s_branch .LBB4_1060
.LBB4_1066:                             ;   in Loop: Header=BB4_1063 Depth=3
	s_add_i32 s75, s75, 1
	s_mov_b32 s78, -1
                                        ; implicit-def: $vgpr2
	s_and_saveexec_b32 s88, s79
	s_cbranch_execz .LBB4_1061
	s_branch .LBB4_1060
.LBB4_1067:                             ;   in Loop: Header=BB4_1055 Depth=2
	s_or_b32 exec_lo, exec_lo, s24
	s_xor_b32 s16, s27, -1
	s_and_saveexec_b32 s24, s16
	s_xor_b32 s16, exec_lo, s24
	s_cbranch_execz .LBB4_1069
; %bb.1068:                             ;   in Loop: Header=BB4_1055 Depth=2
	v_or_b32_e32 v85, 64, v85
	s_waitcnt vmcnt(0) lgkmcnt(0)
	s_waitcnt_vscnt null, 0x0
	ds_write_b32 v0, v2
	s_trap 2
.LBB4_1069:                             ;   in Loop: Header=BB4_1055 Depth=2
	s_or_b32 exec_lo, exec_lo, s16
.LBB4_1070:                             ;   in Loop: Header=BB4_1055 Depth=2
	s_or_b32 exec_lo, exec_lo, s22
	v_and_b32_e32 v2, 0x100, v85
	s_mov_b32 s16, -1
	;;#ASMSTART
	s_wakeup
	;;#ASMEND
	v_cmp_ne_u32_e32 vcc_lo, 0, v2
	v_and_b32_e32 v2, 7, v36
                                        ; implicit-def: $vgpr36_vgpr37
	s_and_saveexec_b32 s22, vcc_lo
	s_cbranch_execz .LBB4_1074
; %bb.1071:                             ;   in Loop: Header=BB4_1055 Depth=2
	v_mad_u64_u32 v[48:49], null, v2, 24, v[6:7]
	s_mov_b32 s24, exec_lo
                                        ; implicit-def: $vgpr36_vgpr37
	flat_load_dword v9, v[48:49]
	s_waitcnt vmcnt(0) lgkmcnt(0)
	v_cmp_ne_u32_e32 vcc_lo, 1, v9
	v_cmpx_eq_u32_e32 1, v9
	s_cbranch_execz .LBB4_1073
; %bb.1072:                             ;   in Loop: Header=BB4_1055 Depth=2
	flat_load_dword v36, v[48:49] offset:4 glc dlc
	s_waitcnt vmcnt(0) lgkmcnt(0)
	v_ashrrev_i32_e32 v37, 31, v36
	v_lshrrev_b64 v[36:37], 3, v[36:37]
.LBB4_1073:                             ;   in Loop: Header=BB4_1055 Depth=2
	s_or_b32 exec_lo, exec_lo, s24
	s_orn2_b32 s16, vcc_lo, exec_lo
.LBB4_1074:                             ;   in Loop: Header=BB4_1055 Depth=2
	s_or_b32 exec_lo, exec_lo, s22
	s_and_saveexec_b32 s22, s16
; %bb.1075:                             ;   in Loop: Header=BB4_1055 Depth=2
	v_mad_i64_i32 v[36:37], null, v2, v86, 0
; %bb.1076:                             ;   in Loop: Header=BB4_1055 Depth=2
	s_or_b32 exec_lo, exec_lo, s22
	v_lshlrev_b64 v[36:37], 3, v[36:37]
	v_and_b32_e32 v2, 0x2000, v85
	s_mov_b32 s16, exec_lo
	v_add_co_u32 v36, vcc_lo, v22, v36
	v_add_co_ci_u32_e64 v37, null, v23, v37, vcc_lo
	ds_write_b64 v0, v[36:37] offset:720
	v_cmpx_ne_u32_e32 0, v2
	s_cbranch_execz .LBB4_1078
; %bb.1077:                             ;   in Loop: Header=BB4_1055 Depth=2
	ds_read_b64 v[36:37], v0 offset:872
	s_waitcnt lgkmcnt(0)
	v_add_co_u32 v36, vcc_lo, v36, 1
	v_add_co_ci_u32_e64 v37, null, 0, v37, vcc_lo
	ds_write_b64 v0, v[36:37] offset:872
.LBB4_1078:                             ;   in Loop: Header=BB4_1055 Depth=2
	s_or_b32 exec_lo, exec_lo, s16
	v_mov_b32_e32 v36, v38
	v_mov_b32_e32 v37, v39
.LBB4_1079:                             ;   in Loop: Header=BB4_1055 Depth=2
	s_or_b32 exec_lo, exec_lo, s17
	s_and_saveexec_b32 s16, s6
	s_cbranch_execz .LBB4_1098
; %bb.1080:                             ;   in Loop: Header=BB4_1055 Depth=2
	s_and_saveexec_b32 s17, s42
	s_xor_b32 s17, exec_lo, s17
	s_cbranch_execz .LBB4_1095
; %bb.1081:                             ;   in Loop: Header=BB4_1055 Depth=2
	s_and_saveexec_b32 s22, s11
	s_cbranch_execz .LBB4_1094
; %bb.1082:                             ;   in Loop: Header=BB4_1055 Depth=2
	s_mov_b32 s27, exec_lo
	s_mov_b32 s24, exec_lo
	v_mbcnt_lo_u32_b32 v2, s27, 0
	s_waitcnt vmcnt(0) lgkmcnt(0)
	s_waitcnt_vscnt null, 0x0
	buffer_gl1_inv
	buffer_gl0_inv
	v_cmpx_eq_u32_e32 0, v2
	s_cbranch_execz .LBB4_1084
; %bb.1083:                             ;   in Loop: Header=BB4_1055 Depth=2
	s_bcnt1_i32_b32 s27, s27
	v_mov_b32_e32 v2, s27
	ds_add_u64 v0, v[2:3]
	s_trap 2
.LBB4_1084:                             ;   in Loop: Header=BB4_1055 Depth=2
	s_or_b32 exec_lo, exec_lo, s24
	s_trap 2
	ds_read_b64 v[38:39], v0
	s_waitcnt lgkmcnt(0)
	buffer_gl0_inv
	v_add_co_u32 v12, vcc_lo, v12, v87
	v_add_co_ci_u32_e64 v13, null, 0, v13, vcc_lo
	s_mov_b32 s24, exec_lo
	v_cmpx_lt_u64_e64 v[38:39], v[12:13]
	s_cbranch_execz .LBB4_1093
; %bb.1085:                             ;   in Loop: Header=BB4_1055 Depth=2
	s_mov_b32 s27, 0
	s_mov_b32 s75, 0
                                        ; implicit-def: $sgpr73
                                        ; implicit-def: $sgpr74
	s_inst_prefetch 0x1
	s_branch .LBB4_1087
	.p2align	6
.LBB4_1086:                             ;   in Loop: Header=BB4_1087 Depth=3
	s_or_b32 exec_lo, exec_lo, s77
	s_and_b32 s76, exec_lo, s78
	s_or_b32 s27, s76, s27
	s_andn2_b32 s73, s73, exec_lo
	s_and_b32 s76, s74, exec_lo
	s_or_b32 s73, s73, s76
	s_andn2_b32 exec_lo, exec_lo, s27
	s_cbranch_execz .LBB4_1091
.LBB4_1087:                             ;   Parent Loop BB4_47 Depth=1
                                        ;     Parent Loop BB4_1055 Depth=2
                                        ; =>    This Inner Loop Header: Depth=3
	s_add_i32 s75, s75, 1
	s_cmpk_lg_i32 s75, 0x2710
	s_cselect_b32 s76, -1, 0
	s_and_b32 vcc_lo, exec_lo, s76
	s_cbranch_vccz .LBB4_1089
; %bb.1088:                             ;   in Loop: Header=BB4_1087 Depth=3
	s_mov_b32 s78, -1
	s_or_b32 s74, s74, exec_lo
	s_and_saveexec_b32 s77, s76
	s_cbranch_execz .LBB4_1086
	s_branch .LBB4_1090
	.p2align	6
.LBB4_1089:                             ;   in Loop: Header=BB4_1087 Depth=3
	s_trap 2
	ds_read_b64 v[38:39], v0
	s_andn2_b32 s76, s76, exec_lo
	s_mov_b32 s75, 0
	s_waitcnt lgkmcnt(0)
	flat_load_dword v2, v[38:39] glc dlc
	s_waitcnt vmcnt(0) lgkmcnt(0)
	buffer_gl1_inv
	buffer_gl0_inv
	v_cmp_eq_u32_e32 vcc_lo, 0, v2
	s_and_b32 s77, vcc_lo, exec_lo
	s_or_b32 s76, s76, s77
	s_mov_b32 s78, -1
	s_or_b32 s74, s74, exec_lo
	s_and_saveexec_b32 s77, s76
	s_cbranch_execz .LBB4_1086
.LBB4_1090:                             ;   in Loop: Header=BB4_1087 Depth=3
	s_sleep 1
	s_trap 2
	ds_read_b64 v[38:39], v0
	s_waitcnt lgkmcnt(0)
	buffer_gl0_inv
	s_andn2_b32 s74, s74, exec_lo
	v_cmp_ge_u64_e32 vcc_lo, v[38:39], v[12:13]
	s_orn2_b32 s78, vcc_lo, exec_lo
	s_branch .LBB4_1086
.LBB4_1091:                             ;   in Loop: Header=BB4_1055 Depth=2
	s_inst_prefetch 0x2
	s_or_b32 exec_lo, exec_lo, s27
	s_and_saveexec_b32 s27, s73
	s_xor_b32 s27, exec_lo, s27
	s_cbranch_execz .LBB4_1093
; %bb.1092:                             ;   in Loop: Header=BB4_1055 Depth=2
	ds_write_b32 v0, v98
	s_trap 2
.LBB4_1093:                             ;   in Loop: Header=BB4_1055 Depth=2
	s_or_b32 exec_lo, exec_lo, s24
	;;#ASMSTART
	s_wakeup
	;;#ASMEND
.LBB4_1094:                             ;   in Loop: Header=BB4_1055 Depth=2
	s_or_b32 exec_lo, exec_lo, s22
.LBB4_1095:                             ;   in Loop: Header=BB4_1055 Depth=2
	s_andn2_saveexec_b32 s17, s17
	s_cbranch_execz .LBB4_1097
; %bb.1096:                             ;   in Loop: Header=BB4_1055 Depth=2
	s_waitcnt vmcnt(0) lgkmcnt(0)
	s_waitcnt_vscnt null, 0x0
	buffer_gl1_inv
	buffer_gl0_inv
	s_barrier
.LBB4_1097:                             ;   in Loop: Header=BB4_1055 Depth=2
	s_or_b32 exec_lo, exec_lo, s17
.LBB4_1098:                             ;   in Loop: Header=BB4_1055 Depth=2
	s_or_b32 exec_lo, exec_lo, s16
	s_trap 2
	ds_read_b32 v9, v0
	v_and_b32_e32 v2, 0x4000, v85
	s_xor_b32 s16, s5, -1
	v_cmp_ne_u32_e32 vcc_lo, 0, v2
	s_and_b32 s17, s16, vcc_lo
	s_and_saveexec_b32 s16, s17
	s_cbranch_execz .LBB4_1117
; %bb.1099:                             ;   in Loop: Header=BB4_1055 Depth=2
	s_and_saveexec_b32 s17, s42
	s_xor_b32 s17, exec_lo, s17
	s_cbranch_execz .LBB4_1114
; %bb.1100:                             ;   in Loop: Header=BB4_1055 Depth=2
	s_and_saveexec_b32 s22, s11
	s_cbranch_execz .LBB4_1113
; %bb.1101:                             ;   in Loop: Header=BB4_1055 Depth=2
	s_mov_b32 s27, exec_lo
	s_mov_b32 s24, exec_lo
	v_mbcnt_lo_u32_b32 v2, s27, 0
	s_waitcnt vmcnt(0) lgkmcnt(0)
	s_waitcnt_vscnt null, 0x0
	buffer_gl1_inv
	buffer_gl0_inv
	v_cmpx_eq_u32_e32 0, v2
	s_cbranch_execz .LBB4_1103
; %bb.1102:                             ;   in Loop: Header=BB4_1055 Depth=2
	s_bcnt1_i32_b32 s27, s27
	v_mov_b32_e32 v2, s27
	ds_add_u64 v0, v[2:3]
	s_trap 2
.LBB4_1103:                             ;   in Loop: Header=BB4_1055 Depth=2
	s_or_b32 exec_lo, exec_lo, s24
	s_trap 2
	ds_read_b64 v[38:39], v0
	s_waitcnt lgkmcnt(0)
	buffer_gl0_inv
	v_add_co_u32 v12, vcc_lo, v12, v87
	v_add_co_ci_u32_e64 v13, null, 0, v13, vcc_lo
	s_mov_b32 s24, exec_lo
	v_cmpx_lt_u64_e64 v[38:39], v[12:13]
	s_cbranch_execz .LBB4_1112
; %bb.1104:                             ;   in Loop: Header=BB4_1055 Depth=2
	s_mov_b32 s27, 0
	s_mov_b32 s75, 0
                                        ; implicit-def: $sgpr73
                                        ; implicit-def: $sgpr74
	s_inst_prefetch 0x1
	s_branch .LBB4_1106
	.p2align	6
.LBB4_1105:                             ;   in Loop: Header=BB4_1106 Depth=3
	s_or_b32 exec_lo, exec_lo, s77
	s_and_b32 s76, exec_lo, s78
	s_or_b32 s27, s76, s27
	s_andn2_b32 s73, s73, exec_lo
	s_and_b32 s76, s74, exec_lo
	s_or_b32 s73, s73, s76
	s_andn2_b32 exec_lo, exec_lo, s27
	s_cbranch_execz .LBB4_1110
.LBB4_1106:                             ;   Parent Loop BB4_47 Depth=1
                                        ;     Parent Loop BB4_1055 Depth=2
                                        ; =>    This Inner Loop Header: Depth=3
	s_add_i32 s75, s75, 1
	s_cmpk_lg_i32 s75, 0x2710
	s_cselect_b32 s76, -1, 0
	s_and_b32 vcc_lo, exec_lo, s76
	s_cbranch_vccz .LBB4_1108
; %bb.1107:                             ;   in Loop: Header=BB4_1106 Depth=3
	s_mov_b32 s78, -1
	s_or_b32 s74, s74, exec_lo
	s_and_saveexec_b32 s77, s76
	s_cbranch_execz .LBB4_1105
	s_branch .LBB4_1109
	.p2align	6
.LBB4_1108:                             ;   in Loop: Header=BB4_1106 Depth=3
	s_trap 2
	ds_read_b64 v[38:39], v0
	s_andn2_b32 s76, s76, exec_lo
	s_mov_b32 s75, 0
	s_waitcnt lgkmcnt(0)
	flat_load_dword v2, v[38:39] glc dlc
	s_waitcnt vmcnt(0) lgkmcnt(0)
	buffer_gl1_inv
	buffer_gl0_inv
	v_cmp_eq_u32_e32 vcc_lo, 0, v2
	s_and_b32 s77, vcc_lo, exec_lo
	s_or_b32 s76, s76, s77
	s_mov_b32 s78, -1
	s_or_b32 s74, s74, exec_lo
	s_and_saveexec_b32 s77, s76
	s_cbranch_execz .LBB4_1105
.LBB4_1109:                             ;   in Loop: Header=BB4_1106 Depth=3
	s_sleep 1
	s_trap 2
	ds_read_b64 v[38:39], v0
	s_waitcnt lgkmcnt(0)
	buffer_gl0_inv
	s_andn2_b32 s74, s74, exec_lo
	v_cmp_ge_u64_e32 vcc_lo, v[38:39], v[12:13]
	s_orn2_b32 s78, vcc_lo, exec_lo
	s_branch .LBB4_1105
.LBB4_1110:                             ;   in Loop: Header=BB4_1055 Depth=2
	s_inst_prefetch 0x2
	s_or_b32 exec_lo, exec_lo, s27
	s_and_saveexec_b32 s27, s73
	s_xor_b32 s27, exec_lo, s27
	s_cbranch_execz .LBB4_1112
; %bb.1111:                             ;   in Loop: Header=BB4_1055 Depth=2
	ds_write_b32 v0, v98
	s_trap 2
.LBB4_1112:                             ;   in Loop: Header=BB4_1055 Depth=2
	s_or_b32 exec_lo, exec_lo, s24
	;;#ASMSTART
	s_wakeup
	;;#ASMEND
.LBB4_1113:                             ;   in Loop: Header=BB4_1055 Depth=2
	s_or_b32 exec_lo, exec_lo, s22
.LBB4_1114:                             ;   in Loop: Header=BB4_1055 Depth=2
	s_andn2_saveexec_b32 s17, s17
	s_cbranch_execz .LBB4_1116
; %bb.1115:                             ;   in Loop: Header=BB4_1055 Depth=2
	s_waitcnt vmcnt(0) lgkmcnt(0)
	s_waitcnt_vscnt null, 0x0
	buffer_gl1_inv
	buffer_gl0_inv
	s_barrier
.LBB4_1116:                             ;   in Loop: Header=BB4_1055 Depth=2
	s_or_b32 exec_lo, exec_lo, s17
.LBB4_1117:                             ;   in Loop: Header=BB4_1055 Depth=2
	s_or_b32 exec_lo, exec_lo, s16
	s_trap 2
	ds_read_b64 v[38:39], v0
	v_sub_nc_u32_e32 v2, v54, v8
	v_min_i32_e32 v55, v55, v2
	s_waitcnt lgkmcnt(0)
	v_cmp_eq_u64_e32 vcc_lo, 0, v[38:39]
	s_cbranch_vccnz .LBB4_1125
; %bb.1118:                             ;   in Loop: Header=BB4_1055 Depth=2
	s_trap 2
	ds_read_b64 v[48:49], v0
	s_waitcnt lgkmcnt(0)
	v_cmp_eq_u64_e32 vcc_lo, 0, v[48:49]
	s_cbranch_vccnz .LBB4_1125
; %bb.1119:                             ;   in Loop: Header=BB4_1055 Depth=2
	s_mov_b32 s16, -1
	s_and_saveexec_b32 s17, s13
	s_cbranch_execz .LBB4_1121
; %bb.1120:                             ;   in Loop: Header=BB4_1055 Depth=2
	ds_read_b32 v2, v0 offset:720
	s_waitcnt lgkmcnt(0)
	v_and_b32_e32 v2, 15, v2
	v_cmp_eq_u32_e32 vcc_lo, 0, v2
	s_orn2_b32 s16, vcc_lo, exec_lo
.LBB4_1121:                             ;   in Loop: Header=BB4_1055 Depth=2
	s_or_b32 exec_lo, exec_lo, s17
	s_and_saveexec_b32 s17, s12
	s_cbranch_execz .LBB4_1123
; %bb.1122:                             ;   in Loop: Header=BB4_1055 Depth=2
	ds_read_b32 v2, v0 offset:784
	s_waitcnt lgkmcnt(0)
	v_and_b32_e32 v2, 15, v2
	v_cmp_eq_u32_e32 vcc_lo, 0, v2
	s_and_b32 s22, s16, vcc_lo
	s_andn2_b32 s16, s16, exec_lo
	s_and_b32 s22, s22, exec_lo
	s_or_b32 s16, s16, s22
.LBB4_1123:                             ;   in Loop: Header=BB4_1055 Depth=2
	s_or_b32 exec_lo, exec_lo, s17
	v_cmp_eq_u32_e32 vcc_lo, 0, v9
	s_xor_b32 s16, s16, -1
	v_cndmask_b32_e64 v50, 0, 1, s16
	s_mov_b32 s16, -1
	v_cndmask_b32_e32 v2, 0, v55, vcc_lo
	v_cmp_ne_u32_e32 vcc_lo, 0, v50
	v_mov_b32_e32 v50, 0
	v_lshlrev_b32_e32 v9, 3, v2
	s_cbranch_vccz .LBB4_1130
; %bb.1124:                             ;   in Loop: Header=BB4_1055 Depth=2
	v_mov_b32_e32 v51, v0
	s_and_saveexec_b32 s17, s16
	s_cbranch_execnz .LBB4_1141
	s_branch .LBB4_1149
.LBB4_1125:                             ;   in Loop: Header=BB4_1055 Depth=2
	s_mov_b32 s16, 0
	s_and_saveexec_b32 s17, s6
	s_cbranch_execnz .LBB4_1150
.LBB4_1126:                             ;   in Loop: Header=BB4_1055 Depth=2
	s_or_b32 exec_lo, exec_lo, s17
	s_and_saveexec_b32 s17, s15
	s_xor_b32 s17, exec_lo, s17
	s_cbranch_execz .LBB4_1168
.LBB4_1127:                             ;   in Loop: Header=BB4_1055 Depth=2
	v_and_b32_e32 v2, 16, v85
	v_cmp_ne_u32_e32 vcc_lo, 0, v2
	s_and_b32 s22, vcc_lo, s16
	s_and_saveexec_b32 s16, s22
	s_cbranch_execz .LBB4_1129
; %bb.1128:                             ;   in Loop: Header=BB4_1055 Depth=2
	s_waitcnt vmcnt(0) lgkmcnt(0)
	s_waitcnt_vscnt null, 0x0
	buffer_gl1_inv
	buffer_gl0_inv
.LBB4_1129:                             ;   in Loop: Header=BB4_1055 Depth=2
	s_or_b32 exec_lo, exec_lo, s16
	s_andn2_saveexec_b32 s16, s17
	s_cbranch_execz .LBB4_1187
	s_branch .LBB4_1169
.LBB4_1130:                             ;   in Loop: Header=BB4_1055 Depth=2
	v_ashrrev_i32_e32 v50, 31, v9
	s_mov_b32 s17, exec_lo
	v_lshrrev_b32_e32 v50, 21, v50
	v_add_nc_u32_e32 v50, v9, v50
	v_ashrrev_i32_e32 v65, 11, v50
	v_sub_nc_u32_e32 v64, v65, v97
	v_cmpx_lt_i32_e32 0, v64
	s_cbranch_execz .LBB4_1134
; %bb.1131:                             ;   in Loop: Header=BB4_1055 Depth=2
	v_mov_b32_e32 v51, v49
	v_mov_b32_e32 v53, v39
	;; [unrolled: 1-line block ×4, first 2 shown]
	s_mov_b32 s22, 0
	s_inst_prefetch 0x1
	.p2align	6
.LBB4_1132:                             ;   Parent Loop BB4_47 Depth=1
                                        ;     Parent Loop BB4_1055 Depth=2
                                        ; =>    This Inner Loop Header: Depth=3
	v_add_co_u32 v70, vcc_lo, v116, v52
	v_add_co_ci_u32_e64 v71, null, 0, v53, vcc_lo
	v_sub_nc_u32_e32 v64, v64, v87
	s_clause 0x3
	global_load_dwordx4 v[66:69], v[70:71], off slc
	global_load_dwordx4 v[80:83], v[70:71], off offset:512 slc
	global_load_dwordx4 v[43:46], v[70:71], off offset:1024 slc
	;; [unrolled: 1-line block ×3, first 2 shown]
	v_add_co_u32 v70, vcc_lo, v116, v50
	v_add_co_ci_u32_e64 v71, null, 0, v51, vcc_lo
	v_add_co_u32 v52, vcc_lo, v52, v101
	v_add_co_ci_u32_e64 v53, null, 0, v53, vcc_lo
	v_add_co_u32 v50, vcc_lo, v50, v101
	v_cmp_gt_i32_e64 s16, 1, v64
	v_add_co_ci_u32_e64 v51, null, 0, v51, vcc_lo
	s_waitcnt vmcnt(3)
	global_store_dwordx4 v[70:71], v[66:69], off glc slc
	s_waitcnt vmcnt(2)
	global_store_dwordx4 v[70:71], v[80:83], off offset:512 glc slc
	s_waitcnt vmcnt(1)
	global_store_dwordx4 v[70:71], v[43:46], off offset:1024 glc slc
	;; [unrolled: 2-line block ×3, first 2 shown]
	s_or_b32 s22, s16, s22
	s_andn2_b32 exec_lo, exec_lo, s22
	s_cbranch_execnz .LBB4_1132
; %bb.1133:                             ;   in Loop: Header=BB4_1055 Depth=2
	s_inst_prefetch 0x2
	s_or_b32 exec_lo, exec_lo, s22
.LBB4_1134:                             ;   in Loop: Header=BB4_1055 Depth=2
	s_or_b32 exec_lo, exec_lo, s17
	v_lshlrev_b32_e32 v52, 11, v65
	v_mov_b32_e32 v50, 0
	s_mov_b32 s16, 0
	s_mov_b32 s22, exec_lo
                                        ; implicit-def: $vgpr51
	v_cmpx_ne_u32_e64 v9, v52
	s_cbranch_execz .LBB4_1140
; %bb.1135:                             ;   in Loop: Header=BB4_1055 Depth=2
	v_lshlrev_b32_e32 v50, 5, v64
	v_sub_nc_u32_e32 v64, v9, v52
	s_mov_b32 s24, exec_lo
	v_sub_nc_u32_e32 v50, v96, v50
	v_ashrrev_i32_e32 v53, 31, v64
	v_ashrrev_i32_e32 v51, 31, v50
	v_lshrrev_b32_e32 v51, 27, v51
	v_add_nc_u32_e32 v65, v50, v51
	v_lshrrev_b32_e32 v51, 23, v53
	v_and_b32_e32 v53, 0xffffffe0, v65
	v_add_nc_u32_e32 v66, v64, v51
	v_ashrrev_i32_e32 v67, 5, v65
	v_sub_nc_u32_e32 v51, v50, v53
	v_and_b32_e32 v50, 0xfffffe00, v66
	v_ashrrev_i32_e32 v68, 9, v66
	v_lshlrev_b32_e32 v65, 4, v51
	v_sub_nc_u32_e32 v53, v64, v50
	v_lshl_add_u32 v66, v67, 9, v65
	v_cmp_lt_i32_e32 vcc_lo, 15, v53
	v_sub_nc_u32_e32 v65, v64, v66
	v_add_co_ci_u32_e64 v68, null, 0, v68, vcc_lo
	v_sub_nc_u32_e32 v64, v68, v67
	v_cmpx_lt_i32_e32 15, v65
	s_cbranch_execz .LBB4_1139
; %bb.1136:                             ;   in Loop: Header=BB4_1055 Depth=2
	v_add_nc_u32_e32 v66, v66, v52
	s_mov_b32 s27, 0
	v_ashrrev_i32_e32 v67, 31, v66
	.p2align	6
.LBB4_1137:                             ;   Parent Loop BB4_47 Depth=1
                                        ;     Parent Loop BB4_1055 Depth=2
                                        ; =>    This Inner Loop Header: Depth=3
	v_add_co_u32 v68, s16, v38, v66
	v_add_co_ci_u32_e64 v69, null, v39, v67, s16
	v_sub_nc_u32_e32 v65, v65, v102
	v_add_co_u32 v80, s16, v48, v66
	global_load_dwordx4 v[68:71], v[68:69], off slc
	v_add_co_ci_u32_e64 v81, null, v49, v67, s16
	v_cmp_gt_i32_e64 s16, 16, v65
	v_add_co_u32 v66, s17, v66, v102
	v_sub_nc_u32_e32 v64, v64, v87
	v_add_co_ci_u32_e64 v67, null, 0, v67, s17
	s_or_b32 s27, s16, s27
	s_waitcnt vmcnt(0)
	global_store_dwordx4 v[80:81], v[68:71], off glc slc
	s_andn2_b32 exec_lo, exec_lo, s27
	s_cbranch_execnz .LBB4_1137
; %bb.1138:                             ;   in Loop: Header=BB4_1055 Depth=2
	s_or_b32 exec_lo, exec_lo, s27
.LBB4_1139:                             ;   in Loop: Header=BB4_1055 Depth=2
	s_or_b32 exec_lo, exec_lo, s24
	v_and_b32_e32 v9, 8, v9
	v_cmp_lt_i32_e64 s16, 0, v64
	v_sub_nc_u32_e32 v65, v53, v9
	v_cndmask_b32_e64 v66, 0, v87, s16
	v_cndmask_b32_e32 v9, v53, v9, vcc_lo
	v_cndmask_b32_e32 v53, 0, v65, vcc_lo
	v_sub_nc_u32_e32 v64, v66, v64
	v_cmp_ne_u32_e32 vcc_lo, 0, v9
	v_add3_u32 v50, v50, v52, v53
	v_lshl_add_u32 v51, v64, 5, v51
	s_and_b32 s16, vcc_lo, exec_lo
.LBB4_1140:                             ;   in Loop: Header=BB4_1055 Depth=2
	s_or_b32 exec_lo, exec_lo, s22
	s_and_saveexec_b32 s17, s16
	s_cbranch_execz .LBB4_1149
.LBB4_1141:                             ;   in Loop: Header=BB4_1055 Depth=2
	v_ashrrev_i32_e32 v52, 31, v51
	v_ashrrev_i32_e32 v53, 31, v9
	s_mov_b32 s22, exec_lo
	v_lshrrev_b32_e32 v52, 27, v52
	v_lshrrev_b32_e32 v53, 23, v53
	v_add_nc_u32_e32 v65, v51, v52
	v_add_nc_u32_e32 v53, v9, v53
	v_ashrrev_i32_e32 v52, 5, v65
	v_ashrrev_i32_e32 v64, 9, v53
	v_sub_nc_u32_e32 v53, v64, v52
	v_cmpx_lt_i32_e32 0, v53
	s_cbranch_execz .LBB4_1145
; %bb.1142:                             ;   in Loop: Header=BB4_1055 Depth=2
	v_and_b32_e32 v65, 0x1fffffe0, v65
	v_lshlrev_b32_e32 v66, 9, v52
	s_mov_b32 s24, 0
	v_sub_nc_u32_e32 v65, v51, v65
	v_lshlrev_b32_e32 v65, 3, v65
	v_add3_u32 v65, v65, v50, v66
	v_ashrrev_i32_e32 v66, 31, v65
	.p2align	6
.LBB4_1143:                             ;   Parent Loop BB4_47 Depth=1
                                        ;     Parent Loop BB4_1055 Depth=2
                                        ; =>    This Inner Loop Header: Depth=3
	v_add_co_u32 v67, vcc_lo, v38, v65
	v_add_co_ci_u32_e64 v68, null, v39, v66, vcc_lo
	v_sub_nc_u32_e32 v53, v53, v87
	v_add_co_u32 v80, vcc_lo, v48, v65
	s_clause 0x1
	flat_load_dwordx2 v[69:70], v[67:68] slc
	flat_load_dwordx2 v[67:68], v[67:68] offset:256 slc
	v_add_co_ci_u32_e64 v81, null, v49, v66, vcc_lo
	v_cmp_gt_i32_e32 vcc_lo, 1, v53
	v_add_co_u32 v65, s16, v65, v102
	v_add_co_ci_u32_e64 v66, null, 0, v66, s16
	s_or_b32 s24, vcc_lo, s24
	s_waitcnt vmcnt(1) lgkmcnt(1)
	flat_store_dwordx2 v[80:81], v[69:70] glc slc
	s_waitcnt vmcnt(0) lgkmcnt(1)
	flat_store_dwordx2 v[80:81], v[67:68] offset:256 glc slc
	s_andn2_b32 exec_lo, exec_lo, s24
	s_cbranch_execnz .LBB4_1143
; %bb.1144:                             ;   in Loop: Header=BB4_1055 Depth=2
	s_or_b32 exec_lo, exec_lo, s24
.LBB4_1145:                             ;   in Loop: Header=BB4_1055 Depth=2
	s_or_b32 exec_lo, exec_lo, s22
	v_lshlrev_b32_e32 v64, 9, v64
	v_cmp_ne_u32_e32 vcc_lo, v9, v64
	s_and_b32 exec_lo, exec_lo, vcc_lo
	s_cbranch_execz .LBB4_1149
; %bb.1146:                             ;   in Loop: Header=BB4_1055 Depth=2
	v_lshlrev_b32_e32 v52, 5, v52
	v_sub_nc_u32_e32 v51, v51, v52
	v_lshlrev_b32_e32 v52, 5, v53
	v_sub_nc_u32_e32 v51, v51, v52
	v_ashrrev_i32_e32 v52, 31, v51
	v_lshrrev_b32_e32 v52, 27, v52
	v_add_nc_u32_e32 v52, v51, v52
	v_and_b32_e32 v53, 0x1fffffe0, v52
	v_lshlrev_b32_e32 v52, 3, v52
	v_sub_nc_u32_e32 v51, v51, v53
	v_and_b32_e32 v52, 0xffffff00, v52
	v_lshlrev_b32_e32 v51, 3, v51
	v_add3_u32 v51, v52, v51, v64
	v_sub_nc_u32_e32 v9, v9, v51
	v_cmp_lt_i32_e32 vcc_lo, 7, v9
	s_and_b32 exec_lo, exec_lo, vcc_lo
	s_cbranch_execz .LBB4_1149
; %bb.1147:                             ;   in Loop: Header=BB4_1055 Depth=2
	v_add_nc_u32_e32 v50, v51, v50
	s_mov_b32 s22, 0
	v_ashrrev_i32_e32 v51, 31, v50
	.p2align	6
.LBB4_1148:                             ;   Parent Loop BB4_47 Depth=1
                                        ;     Parent Loop BB4_1055 Depth=2
                                        ; =>    This Inner Loop Header: Depth=3
	v_add_co_u32 v52, vcc_lo, v38, v50
	v_add_co_ci_u32_e64 v53, null, v39, v51, vcc_lo
	v_sub_nc_u32_e32 v9, v9, v103
	v_add_co_u32 v64, vcc_lo, v48, v50
	flat_load_dwordx2 v[52:53], v[52:53] slc
	v_add_co_ci_u32_e64 v65, null, v49, v51, vcc_lo
	v_cmp_gt_i32_e32 vcc_lo, 8, v9
	v_add_co_u32 v50, s16, v50, v103
	v_add_co_ci_u32_e64 v51, null, 0, v51, s16
	s_or_b32 s22, vcc_lo, s22
	s_waitcnt vmcnt(0) lgkmcnt(0)
	flat_store_dwordx2 v[64:65], v[52:53] glc slc
	s_andn2_b32 exec_lo, exec_lo, s22
	s_cbranch_execnz .LBB4_1148
.LBB4_1149:                             ;   in Loop: Header=BB4_1055 Depth=2
	s_or_b32 exec_lo, exec_lo, s17
	v_cmp_lt_i32_e64 s16, 0, v2
	s_and_saveexec_b32 s17, s6
	s_cbranch_execz .LBB4_1126
.LBB4_1150:                             ;   in Loop: Header=BB4_1055 Depth=2
	s_and_saveexec_b32 s22, s42
	s_xor_b32 s22, exec_lo, s22
	s_cbranch_execz .LBB4_1165
; %bb.1151:                             ;   in Loop: Header=BB4_1055 Depth=2
	s_and_saveexec_b32 s24, s11
	s_cbranch_execz .LBB4_1164
; %bb.1152:                             ;   in Loop: Header=BB4_1055 Depth=2
	s_mov_b32 s73, exec_lo
	s_mov_b32 s27, exec_lo
	v_mbcnt_lo_u32_b32 v2, s73, 0
	s_waitcnt vmcnt(0) lgkmcnt(0)
	s_waitcnt_vscnt null, 0x0
	buffer_gl1_inv
	buffer_gl0_inv
	v_cmpx_eq_u32_e32 0, v2
	s_cbranch_execz .LBB4_1154
; %bb.1153:                             ;   in Loop: Header=BB4_1055 Depth=2
	s_bcnt1_i32_b32 s73, s73
	v_mov_b32_e32 v2, s73
	ds_add_u64 v0, v[2:3]
	s_trap 2
.LBB4_1154:                             ;   in Loop: Header=BB4_1055 Depth=2
	s_or_b32 exec_lo, exec_lo, s27
	s_trap 2
	ds_read_b64 v[38:39], v0
	s_waitcnt lgkmcnt(0)
	buffer_gl0_inv
	v_add_co_u32 v12, vcc_lo, v12, v87
	v_add_co_ci_u32_e64 v13, null, 0, v13, vcc_lo
	s_mov_b32 s27, exec_lo
	v_cmpx_lt_u64_e64 v[38:39], v[12:13]
	s_cbranch_execz .LBB4_1163
; %bb.1155:                             ;   in Loop: Header=BB4_1055 Depth=2
	s_mov_b32 s73, 0
	s_mov_b32 s76, 0
                                        ; implicit-def: $sgpr74
                                        ; implicit-def: $sgpr75
	s_inst_prefetch 0x1
	s_branch .LBB4_1157
	.p2align	6
.LBB4_1156:                             ;   in Loop: Header=BB4_1157 Depth=3
	s_or_b32 exec_lo, exec_lo, s78
	s_and_b32 s77, exec_lo, s79
	s_or_b32 s73, s77, s73
	s_andn2_b32 s74, s74, exec_lo
	s_and_b32 s77, s75, exec_lo
	s_or_b32 s74, s74, s77
	s_andn2_b32 exec_lo, exec_lo, s73
	s_cbranch_execz .LBB4_1161
.LBB4_1157:                             ;   Parent Loop BB4_47 Depth=1
                                        ;     Parent Loop BB4_1055 Depth=2
                                        ; =>    This Inner Loop Header: Depth=3
	s_add_i32 s76, s76, 1
	s_cmpk_lg_i32 s76, 0x2710
	s_cselect_b32 s77, -1, 0
	s_and_b32 vcc_lo, exec_lo, s77
	s_cbranch_vccz .LBB4_1159
; %bb.1158:                             ;   in Loop: Header=BB4_1157 Depth=3
	s_mov_b32 s79, -1
	s_or_b32 s75, s75, exec_lo
	s_and_saveexec_b32 s78, s77
	s_cbranch_execz .LBB4_1156
	s_branch .LBB4_1160
	.p2align	6
.LBB4_1159:                             ;   in Loop: Header=BB4_1157 Depth=3
	s_trap 2
	ds_read_b64 v[38:39], v0
	s_andn2_b32 s77, s77, exec_lo
	s_mov_b32 s76, 0
	s_waitcnt lgkmcnt(0)
	flat_load_dword v2, v[38:39] glc dlc
	s_waitcnt vmcnt(0) lgkmcnt(0)
	buffer_gl1_inv
	buffer_gl0_inv
	v_cmp_eq_u32_e32 vcc_lo, 0, v2
	s_and_b32 s78, vcc_lo, exec_lo
	s_or_b32 s77, s77, s78
	s_mov_b32 s79, -1
	s_or_b32 s75, s75, exec_lo
	s_and_saveexec_b32 s78, s77
	s_cbranch_execz .LBB4_1156
.LBB4_1160:                             ;   in Loop: Header=BB4_1157 Depth=3
	s_sleep 1
	s_trap 2
	ds_read_b64 v[38:39], v0
	s_waitcnt lgkmcnt(0)
	buffer_gl0_inv
	s_andn2_b32 s75, s75, exec_lo
	v_cmp_ge_u64_e32 vcc_lo, v[38:39], v[12:13]
	s_orn2_b32 s79, vcc_lo, exec_lo
	s_branch .LBB4_1156
.LBB4_1161:                             ;   in Loop: Header=BB4_1055 Depth=2
	s_inst_prefetch 0x2
	s_or_b32 exec_lo, exec_lo, s73
	s_and_saveexec_b32 s73, s74
	s_xor_b32 s73, exec_lo, s73
	s_cbranch_execz .LBB4_1163
; %bb.1162:                             ;   in Loop: Header=BB4_1055 Depth=2
	ds_write_b32 v0, v98
	s_trap 2
.LBB4_1163:                             ;   in Loop: Header=BB4_1055 Depth=2
	s_or_b32 exec_lo, exec_lo, s27
	;;#ASMSTART
	s_wakeup
	;;#ASMEND
.LBB4_1164:                             ;   in Loop: Header=BB4_1055 Depth=2
	s_or_b32 exec_lo, exec_lo, s24
.LBB4_1165:                             ;   in Loop: Header=BB4_1055 Depth=2
	s_andn2_saveexec_b32 s22, s22
	s_cbranch_execz .LBB4_1167
; %bb.1166:                             ;   in Loop: Header=BB4_1055 Depth=2
	s_waitcnt vmcnt(0) lgkmcnt(0)
	s_waitcnt_vscnt null, 0x0
	buffer_gl1_inv
	buffer_gl0_inv
	s_barrier
.LBB4_1167:                             ;   in Loop: Header=BB4_1055 Depth=2
	s_or_b32 exec_lo, exec_lo, s22
	s_or_b32 exec_lo, exec_lo, s17
	s_and_saveexec_b32 s17, s15
	s_xor_b32 s17, exec_lo, s17
	s_cbranch_execnz .LBB4_1127
.LBB4_1168:                             ;   in Loop: Header=BB4_1055 Depth=2
	s_andn2_saveexec_b32 s16, s17
	s_cbranch_execz .LBB4_1187
.LBB4_1169:                             ;   in Loop: Header=BB4_1055 Depth=2
	s_and_saveexec_b32 s17, s42
	s_xor_b32 s17, exec_lo, s17
	s_cbranch_execz .LBB4_1184
; %bb.1170:                             ;   in Loop: Header=BB4_1055 Depth=2
	s_and_saveexec_b32 s22, s11
	s_cbranch_execz .LBB4_1183
; %bb.1171:                             ;   in Loop: Header=BB4_1055 Depth=2
	s_mov_b32 s27, exec_lo
	s_mov_b32 s24, exec_lo
	v_mbcnt_lo_u32_b32 v2, s27, 0
	;;#ASMSTART
	s_waitcnt lgkmcnt(0) vmcnt(0)
	;;#ASMEND
	v_cmpx_eq_u32_e32 0, v2
	s_cbranch_execz .LBB4_1173
; %bb.1172:                             ;   in Loop: Header=BB4_1055 Depth=2
	s_bcnt1_i32_b32 s27, s27
	v_mov_b32_e32 v2, s27
	s_waitcnt vmcnt(0) lgkmcnt(0)
	s_waitcnt_vscnt null, 0x0
	ds_add_u64 v0, v[2:3]
	s_trap 2
.LBB4_1173:                             ;   in Loop: Header=BB4_1055 Depth=2
	s_or_b32 exec_lo, exec_lo, s24
	s_trap 2
	ds_read_b64 v[38:39], v0
	s_waitcnt vmcnt(0) lgkmcnt(0)
	buffer_gl0_inv
	v_add_co_u32 v12, vcc_lo, v12, v87
	v_add_co_ci_u32_e64 v13, null, 0, v13, vcc_lo
	s_mov_b32 s24, exec_lo
	v_cmpx_lt_u64_e64 v[38:39], v[12:13]
	s_cbranch_execz .LBB4_1182
; %bb.1174:                             ;   in Loop: Header=BB4_1055 Depth=2
	s_mov_b32 s27, 0
	s_mov_b32 s75, 0
                                        ; implicit-def: $sgpr73
                                        ; implicit-def: $sgpr74
	s_inst_prefetch 0x1
	s_branch .LBB4_1176
	.p2align	6
.LBB4_1175:                             ;   in Loop: Header=BB4_1176 Depth=3
	s_or_b32 exec_lo, exec_lo, s77
	s_and_b32 s76, exec_lo, s78
	s_or_b32 s27, s76, s27
	s_andn2_b32 s73, s73, exec_lo
	s_and_b32 s76, s74, exec_lo
	s_or_b32 s73, s73, s76
	s_andn2_b32 exec_lo, exec_lo, s27
	s_cbranch_execz .LBB4_1180
.LBB4_1176:                             ;   Parent Loop BB4_47 Depth=1
                                        ;     Parent Loop BB4_1055 Depth=2
                                        ; =>    This Inner Loop Header: Depth=3
	s_add_i32 s75, s75, 1
	s_cmpk_lg_i32 s75, 0x2710
	s_cselect_b32 s76, -1, 0
	s_and_b32 vcc_lo, exec_lo, s76
	s_cbranch_vccz .LBB4_1178
; %bb.1177:                             ;   in Loop: Header=BB4_1176 Depth=3
	s_mov_b32 s78, -1
	s_or_b32 s74, s74, exec_lo
	s_and_saveexec_b32 s77, s76
	s_cbranch_execz .LBB4_1175
	s_branch .LBB4_1179
	.p2align	6
.LBB4_1178:                             ;   in Loop: Header=BB4_1176 Depth=3
	s_trap 2
	ds_read_b64 v[38:39], v0
	s_andn2_b32 s76, s76, exec_lo
	s_mov_b32 s75, 0
	s_waitcnt lgkmcnt(0)
	s_waitcnt_vscnt null, 0x0
	flat_load_dword v2, v[38:39] glc dlc
	s_waitcnt vmcnt(0) lgkmcnt(0)
	buffer_gl1_inv
	buffer_gl0_inv
	v_cmp_eq_u32_e32 vcc_lo, 0, v2
	s_and_b32 s77, vcc_lo, exec_lo
	s_or_b32 s76, s76, s77
	s_mov_b32 s78, -1
	s_or_b32 s74, s74, exec_lo
	s_and_saveexec_b32 s77, s76
	s_cbranch_execz .LBB4_1175
.LBB4_1179:                             ;   in Loop: Header=BB4_1176 Depth=3
	s_sleep 1
	s_trap 2
	ds_read_b64 v[38:39], v0
	s_waitcnt lgkmcnt(0)
	buffer_gl0_inv
	s_andn2_b32 s74, s74, exec_lo
	v_cmp_ge_u64_e32 vcc_lo, v[38:39], v[12:13]
	s_orn2_b32 s78, vcc_lo, exec_lo
	s_branch .LBB4_1175
.LBB4_1180:                             ;   in Loop: Header=BB4_1055 Depth=2
	s_inst_prefetch 0x2
	s_or_b32 exec_lo, exec_lo, s27
	s_and_saveexec_b32 s27, s73
	s_xor_b32 s27, exec_lo, s27
	s_cbranch_execz .LBB4_1182
; %bb.1181:                             ;   in Loop: Header=BB4_1055 Depth=2
	ds_write_b32 v0, v98
	s_trap 2
.LBB4_1182:                             ;   in Loop: Header=BB4_1055 Depth=2
	s_or_b32 exec_lo, exec_lo, s24
	;;#ASMSTART
	s_wakeup
	;;#ASMEND
.LBB4_1183:                             ;   in Loop: Header=BB4_1055 Depth=2
	s_or_b32 exec_lo, exec_lo, s22
.LBB4_1184:                             ;   in Loop: Header=BB4_1055 Depth=2
	s_andn2_saveexec_b32 s17, s17
	s_cbranch_execz .LBB4_1186
; %bb.1185:                             ;   in Loop: Header=BB4_1055 Depth=2
	;;#ASMSTART
	s_waitcnt lgkmcnt(0) vmcnt(0)
	;;#ASMEND
	s_barrier
.LBB4_1186:                             ;   in Loop: Header=BB4_1055 Depth=2
	s_or_b32 exec_lo, exec_lo, s17
.LBB4_1187:                             ;   in Loop: Header=BB4_1055 Depth=2
	s_or_b32 exec_lo, exec_lo, s16
	v_and_b32_e32 v2, 32, v85
	s_mov_b32 s16, exec_lo
	v_cmpx_ne_u32_e32 0, v2
	s_cbranch_execz .LBB4_1054
; %bb.1188:                             ;   in Loop: Header=BB4_1055 Depth=2
	v_add_co_u32 v36, vcc_lo, v36, 2
	v_add_co_ci_u32_e64 v37, null, 0, v37, vcc_lo
	s_waitcnt vmcnt(0) lgkmcnt(0)
	s_waitcnt_vscnt null, 0x0
	flat_store_dwordx2 v[20:21], v[36:37]
	s_branch .LBB4_1054
.LBB4_1189:                             ;   in Loop: Header=BB4_47 Depth=1
	s_or_b32 exec_lo, exec_lo, s19
.LBB4_1190:                             ;   in Loop: Header=BB4_47 Depth=1
	s_or_b32 exec_lo, exec_lo, s18
	s_mov_b32 s17, exec_lo
	v_cmpx_gt_i32_e32 2, v2
	s_cbranch_execz .LBB4_46
; %bb.1191:                             ;   in Loop: Header=BB4_47 Depth=1
	v_cmp_eq_u32_e64 s19, 0, v2
	s_mov_b32 s18, 0
	s_branch .LBB4_1193
.LBB4_1192:                             ;   in Loop: Header=BB4_1193 Depth=2
	s_or_b32 exec_lo, exec_lo, s16
	v_add_nc_u32_e32 v8, v55, v8
	s_mov_b32 s19, 0
	s_andn2_b32 exec_lo, exec_lo, s18
	s_cbranch_execz .LBB4_45
.LBB4_1193:                             ;   Parent Loop BB4_47 Depth=1
                                        ; =>  This Loop Header: Depth=2
                                        ;       Child Loop BB4_1199 Depth 3
                                        ;       Child Loop BB4_1223 Depth 3
	;; [unrolled: 1-line block ×3, first 2 shown]
	v_and_b32_e32 v2, 4, v85
	s_mov_b32 s20, exec_lo
	v_cmpx_ne_u32_e32 0, v2
	s_cbranch_execz .LBB4_1215
; %bb.1194:                             ;   in Loop: Header=BB4_1193 Depth=2
	v_add_co_u32 v9, vcc_lo, v36, 2
	v_add_co_ci_u32_e64 v10, null, 0, v37, vcc_lo
	s_mov_b32 s21, exec_lo
	s_waitcnt vmcnt(0) lgkmcnt(1)
	v_cmpx_lt_u64_e64 v[26:27], v[9:10]
	s_cbranch_execz .LBB4_1206
; %bb.1195:                             ;   in Loop: Header=BB4_1193 Depth=2
	v_and_b32_e32 v2, 64, v85
	s_mov_b32 s22, 0
	s_mov_b32 s74, 0
                                        ; implicit-def: $sgpr24
                                        ; implicit-def: $sgpr27
                                        ; implicit-def: $sgpr73
	v_cmp_eq_u32_e32 vcc_lo, 0, v2
	s_branch .LBB4_1199
.LBB4_1196:                             ;   in Loop: Header=BB4_1199 Depth=3
	s_waitcnt vmcnt(0) lgkmcnt(0)
	v_cmp_ge_u64_e64 s16, v[26:27], v[9:10]
	s_or_b32 s77, s77, exec_lo
	s_orn2_b32 s76, s16, exec_lo
.LBB4_1197:                             ;   in Loop: Header=BB4_1199 Depth=3
	s_or_b32 exec_lo, exec_lo, s79
	s_andn2_b32 s16, s73, exec_lo
	s_and_b32 s73, s77, exec_lo
	s_andn2_b32 s27, s27, exec_lo
	s_and_b32 s76, s76, exec_lo
	s_or_b32 s73, s16, s73
	s_or_b32 s27, s27, s76
.LBB4_1198:                             ;   in Loop: Header=BB4_1199 Depth=3
	s_or_b32 exec_lo, exec_lo, s75
	s_and_b32 s16, exec_lo, s27
	s_or_b32 s22, s16, s22
	s_andn2_b32 s16, s24, exec_lo
	s_and_b32 s24, s73, exec_lo
	s_or_b32 s24, s16, s24
	s_andn2_b32 exec_lo, exec_lo, s22
	s_cbranch_execz .LBB4_1203
.LBB4_1199:                             ;   Parent Loop BB4_47 Depth=1
                                        ;     Parent Loop BB4_1193 Depth=2
                                        ; =>    This Inner Loop Header: Depth=3
	s_sleep 1
	s_waitcnt vmcnt(0) lgkmcnt(0)
	flat_load_dwordx2 v[26:27], v[20:21] glc dlc
	s_or_b32 s73, s73, exec_lo
	s_or_b32 s27, s27, exec_lo
                                        ; implicit-def: $vgpr2
	s_and_saveexec_b32 s75, vcc_lo
	s_cbranch_execz .LBB4_1198
; %bb.1200:                             ;   in Loop: Header=BB4_1199 Depth=3
	s_cmpk_lt_i32 s74, 0x270f
	s_mov_b32 s76, -1
	s_cselect_b32 s78, -1, 0
	s_cmpk_gt_i32 s74, 0x270e
	s_cbranch_scc0 .LBB4_1202
; %bb.1201:                             ;   in Loop: Header=BB4_1199 Depth=3
	s_trap 2
	ds_read_b64 v[37:38], v0
	s_andn2_b32 s74, s78, exec_lo
	s_mov_b32 s77, 0
	s_waitcnt vmcnt(0) lgkmcnt(0)
	s_waitcnt_vscnt null, 0x0
	flat_load_dword v2, v[37:38] glc dlc
	s_waitcnt vmcnt(0) lgkmcnt(0)
	buffer_gl1_inv
	buffer_gl0_inv
	v_cmp_eq_u32_e64 s16, 0, v2
	s_and_b32 s16, s16, exec_lo
	s_or_b32 s78, s74, s16
	s_mov_b32 s74, 0
	s_and_saveexec_b32 s79, s78
	s_cbranch_execz .LBB4_1197
	s_branch .LBB4_1196
.LBB4_1202:                             ;   in Loop: Header=BB4_1199 Depth=3
	s_add_i32 s74, s74, 1
	s_mov_b32 s77, -1
                                        ; implicit-def: $vgpr2
	s_and_saveexec_b32 s79, s78
	s_cbranch_execz .LBB4_1197
	s_branch .LBB4_1196
.LBB4_1203:                             ;   in Loop: Header=BB4_1193 Depth=2
	s_or_b32 exec_lo, exec_lo, s22
	s_xor_b32 s16, s24, -1
	s_and_saveexec_b32 s22, s16
	s_xor_b32 s16, exec_lo, s22
	s_cbranch_execz .LBB4_1205
; %bb.1204:                             ;   in Loop: Header=BB4_1193 Depth=2
	v_or_b32_e32 v85, 64, v85
	s_waitcnt vmcnt(0) lgkmcnt(0)
	s_waitcnt_vscnt null, 0x0
	ds_write_b32 v0, v2
	s_trap 2
.LBB4_1205:                             ;   in Loop: Header=BB4_1193 Depth=2
	s_or_b32 exec_lo, exec_lo, s16
.LBB4_1206:                             ;   in Loop: Header=BB4_1193 Depth=2
	s_or_b32 exec_lo, exec_lo, s21
	v_and_b32_e32 v2, 0x100, v85
	s_mov_b32 s16, -1
	;;#ASMSTART
	s_wakeup
	;;#ASMEND
	v_cmp_ne_u32_e32 vcc_lo, 0, v2
	v_and_b32_e32 v2, 7, v36
                                        ; implicit-def: $vgpr36_vgpr37
	s_and_saveexec_b32 s21, vcc_lo
	s_cbranch_execz .LBB4_1210
; %bb.1207:                             ;   in Loop: Header=BB4_1193 Depth=2
	v_mad_u64_u32 v[38:39], null, v2, 24, v[6:7]
	s_mov_b32 s22, exec_lo
                                        ; implicit-def: $vgpr36_vgpr37
	flat_load_dword v11, v[38:39]
	s_waitcnt vmcnt(0) lgkmcnt(0)
	v_cmp_ne_u32_e32 vcc_lo, 1, v11
	v_cmpx_eq_u32_e32 1, v11
	s_cbranch_execz .LBB4_1209
; %bb.1208:                             ;   in Loop: Header=BB4_1193 Depth=2
	flat_load_dword v36, v[38:39] offset:4 glc dlc
	s_waitcnt vmcnt(0) lgkmcnt(0)
	v_ashrrev_i32_e32 v37, 31, v36
	v_lshrrev_b64 v[36:37], 3, v[36:37]
.LBB4_1209:                             ;   in Loop: Header=BB4_1193 Depth=2
	s_or_b32 exec_lo, exec_lo, s22
	s_orn2_b32 s16, vcc_lo, exec_lo
.LBB4_1210:                             ;   in Loop: Header=BB4_1193 Depth=2
	s_or_b32 exec_lo, exec_lo, s21
	s_and_saveexec_b32 s21, s16
; %bb.1211:                             ;   in Loop: Header=BB4_1193 Depth=2
	v_mad_i64_i32 v[36:37], null, v2, v86, 0
; %bb.1212:                             ;   in Loop: Header=BB4_1193 Depth=2
	s_or_b32 exec_lo, exec_lo, s21
	v_lshlrev_b64 v[36:37], 3, v[36:37]
	v_and_b32_e32 v2, 0x2000, v85
	s_mov_b32 s16, exec_lo
	v_add_co_u32 v36, vcc_lo, v22, v36
	v_add_co_ci_u32_e64 v37, null, v23, v37, vcc_lo
	ds_write_b64 v0, v[36:37] offset:720
	v_cmpx_ne_u32_e32 0, v2
	s_cbranch_execz .LBB4_1214
; %bb.1213:                             ;   in Loop: Header=BB4_1193 Depth=2
	ds_read_b64 v[36:37], v0 offset:872
	s_waitcnt lgkmcnt(0)
	v_add_co_u32 v36, vcc_lo, v36, 1
	v_add_co_ci_u32_e64 v37, null, 0, v37, vcc_lo
	ds_write_b64 v0, v[36:37] offset:872
.LBB4_1214:                             ;   in Loop: Header=BB4_1193 Depth=2
	s_or_b32 exec_lo, exec_lo, s16
	v_mov_b32_e32 v37, v10
	v_mov_b32_e32 v36, v9
.LBB4_1215:                             ;   in Loop: Header=BB4_1193 Depth=2
	s_or_b32 exec_lo, exec_lo, s20
	s_xor_b32 s16, s19, -1
	s_and_b32 s16, exec_lo, s16
	s_or_b32 s18, s16, s18
	s_and_saveexec_b32 s16, s6
	s_cbranch_execz .LBB4_1234
; %bb.1216:                             ;   in Loop: Header=BB4_1193 Depth=2
	s_and_saveexec_b32 s19, s42
	s_xor_b32 s19, exec_lo, s19
	s_cbranch_execz .LBB4_1231
; %bb.1217:                             ;   in Loop: Header=BB4_1193 Depth=2
	s_and_saveexec_b32 s20, s11
	s_cbranch_execz .LBB4_1230
; %bb.1218:                             ;   in Loop: Header=BB4_1193 Depth=2
	s_mov_b32 s22, exec_lo
	s_mov_b32 s21, exec_lo
	v_mbcnt_lo_u32_b32 v2, s22, 0
	s_waitcnt vmcnt(0) lgkmcnt(0)
	s_waitcnt_vscnt null, 0x0
	buffer_gl1_inv
	buffer_gl0_inv
	v_cmpx_eq_u32_e32 0, v2
	s_cbranch_execz .LBB4_1220
; %bb.1219:                             ;   in Loop: Header=BB4_1193 Depth=2
	s_bcnt1_i32_b32 s22, s22
	v_mov_b32_e32 v2, s22
	ds_add_u64 v0, v[2:3]
	s_trap 2
.LBB4_1220:                             ;   in Loop: Header=BB4_1193 Depth=2
	s_or_b32 exec_lo, exec_lo, s21
	s_trap 2
	ds_read_b64 v[9:10], v0
	s_waitcnt lgkmcnt(0)
	buffer_gl0_inv
	v_add_co_u32 v12, vcc_lo, v12, v87
	v_add_co_ci_u32_e64 v13, null, 0, v13, vcc_lo
	s_mov_b32 s21, exec_lo
	v_cmpx_lt_u64_e64 v[9:10], v[12:13]
	s_cbranch_execz .LBB4_1229
; %bb.1221:                             ;   in Loop: Header=BB4_1193 Depth=2
	s_mov_b32 s22, 0
	s_mov_b32 s73, 0
                                        ; implicit-def: $sgpr24
                                        ; implicit-def: $sgpr27
	s_inst_prefetch 0x1
	s_branch .LBB4_1223
	.p2align	6
.LBB4_1222:                             ;   in Loop: Header=BB4_1223 Depth=3
	s_or_b32 exec_lo, exec_lo, s75
	s_and_b32 s74, exec_lo, s76
	s_or_b32 s22, s74, s22
	s_andn2_b32 s24, s24, exec_lo
	s_and_b32 s74, s27, exec_lo
	s_or_b32 s24, s24, s74
	s_andn2_b32 exec_lo, exec_lo, s22
	s_cbranch_execz .LBB4_1227
.LBB4_1223:                             ;   Parent Loop BB4_47 Depth=1
                                        ;     Parent Loop BB4_1193 Depth=2
                                        ; =>    This Inner Loop Header: Depth=3
	s_add_i32 s73, s73, 1
	s_cmpk_lg_i32 s73, 0x2710
	s_cselect_b32 s74, -1, 0
	s_and_b32 vcc_lo, exec_lo, s74
	s_cbranch_vccz .LBB4_1225
; %bb.1224:                             ;   in Loop: Header=BB4_1223 Depth=3
	s_mov_b32 s76, -1
	s_or_b32 s27, s27, exec_lo
	s_and_saveexec_b32 s75, s74
	s_cbranch_execz .LBB4_1222
	s_branch .LBB4_1226
	.p2align	6
.LBB4_1225:                             ;   in Loop: Header=BB4_1223 Depth=3
	s_trap 2
	ds_read_b64 v[9:10], v0
	s_andn2_b32 s74, s74, exec_lo
	s_mov_b32 s73, 0
	s_waitcnt lgkmcnt(0)
	flat_load_dword v2, v[9:10] glc dlc
	s_waitcnt vmcnt(0) lgkmcnt(0)
	buffer_gl1_inv
	buffer_gl0_inv
	v_cmp_eq_u32_e32 vcc_lo, 0, v2
	s_and_b32 s75, vcc_lo, exec_lo
	s_or_b32 s74, s74, s75
	s_mov_b32 s76, -1
	s_or_b32 s27, s27, exec_lo
	s_and_saveexec_b32 s75, s74
	s_cbranch_execz .LBB4_1222
.LBB4_1226:                             ;   in Loop: Header=BB4_1223 Depth=3
	s_sleep 1
	s_trap 2
	ds_read_b64 v[9:10], v0
	s_waitcnt lgkmcnt(0)
	buffer_gl0_inv
	s_andn2_b32 s27, s27, exec_lo
	v_cmp_ge_u64_e32 vcc_lo, v[9:10], v[12:13]
	s_orn2_b32 s76, vcc_lo, exec_lo
	s_branch .LBB4_1222
.LBB4_1227:                             ;   in Loop: Header=BB4_1193 Depth=2
	s_inst_prefetch 0x2
	s_or_b32 exec_lo, exec_lo, s22
	s_and_saveexec_b32 s22, s24
	s_xor_b32 s22, exec_lo, s22
	s_cbranch_execz .LBB4_1229
; %bb.1228:                             ;   in Loop: Header=BB4_1193 Depth=2
	ds_write_b32 v0, v98
	s_trap 2
.LBB4_1229:                             ;   in Loop: Header=BB4_1193 Depth=2
	s_or_b32 exec_lo, exec_lo, s21
	;;#ASMSTART
	s_wakeup
	;;#ASMEND
.LBB4_1230:                             ;   in Loop: Header=BB4_1193 Depth=2
	s_or_b32 exec_lo, exec_lo, s20
.LBB4_1231:                             ;   in Loop: Header=BB4_1193 Depth=2
	s_andn2_saveexec_b32 s19, s19
	s_cbranch_execz .LBB4_1233
; %bb.1232:                             ;   in Loop: Header=BB4_1193 Depth=2
	s_waitcnt vmcnt(0) lgkmcnt(0)
	s_waitcnt_vscnt null, 0x0
	buffer_gl1_inv
	buffer_gl0_inv
	s_barrier
.LBB4_1233:                             ;   in Loop: Header=BB4_1193 Depth=2
	s_or_b32 exec_lo, exec_lo, s19
.LBB4_1234:                             ;   in Loop: Header=BB4_1193 Depth=2
	s_or_b32 exec_lo, exec_lo, s16
	v_sub_nc_u32_e32 v2, v54, v8
	v_min_i32_e32 v55, v55, v2
	s_and_saveexec_b32 s16, s15
	s_xor_b32 s19, exec_lo, s16
	s_cbranch_execz .LBB4_1238
; %bb.1235:                             ;   in Loop: Header=BB4_1193 Depth=2
	s_trap 2
	ds_read_b32 v2, v0
	v_cmp_lt_i32_e32 vcc_lo, 0, v55
	s_waitcnt lgkmcnt(0)
	v_readfirstlane_b32 s16, v2
	v_and_b32_e32 v2, 16, v85
	s_cmp_eq_u32 s16, 0
	v_cmp_ne_u32_e64 s16, 0, v2
	s_cselect_b32 s20, -1, 0
	s_and_b32 s20, vcc_lo, s20
	s_and_b32 s20, s16, s20
	s_and_saveexec_b32 s16, s20
	s_cbranch_execz .LBB4_1237
; %bb.1236:                             ;   in Loop: Header=BB4_1193 Depth=2
	s_waitcnt vmcnt(0)
	s_waitcnt_vscnt null, 0x0
	buffer_gl1_inv
	buffer_gl0_inv
.LBB4_1237:                             ;   in Loop: Header=BB4_1193 Depth=2
	s_or_b32 exec_lo, exec_lo, s16
.LBB4_1238:                             ;   in Loop: Header=BB4_1193 Depth=2
	s_andn2_saveexec_b32 s16, s19
	s_cbranch_execz .LBB4_1257
; %bb.1239:                             ;   in Loop: Header=BB4_1193 Depth=2
	s_and_saveexec_b32 s19, s42
	s_xor_b32 s19, exec_lo, s19
	s_cbranch_execz .LBB4_1254
; %bb.1240:                             ;   in Loop: Header=BB4_1193 Depth=2
	s_and_saveexec_b32 s20, s11
	s_cbranch_execz .LBB4_1253
; %bb.1241:                             ;   in Loop: Header=BB4_1193 Depth=2
	s_mov_b32 s22, exec_lo
	s_mov_b32 s21, exec_lo
	v_mbcnt_lo_u32_b32 v2, s22, 0
	;;#ASMSTART
	s_waitcnt lgkmcnt(0) vmcnt(0)
	;;#ASMEND
	v_cmpx_eq_u32_e32 0, v2
	s_cbranch_execz .LBB4_1243
; %bb.1242:                             ;   in Loop: Header=BB4_1193 Depth=2
	s_bcnt1_i32_b32 s22, s22
	v_mov_b32_e32 v2, s22
	s_waitcnt vmcnt(0) lgkmcnt(0)
	s_waitcnt_vscnt null, 0x0
	ds_add_u64 v0, v[2:3]
	s_trap 2
.LBB4_1243:                             ;   in Loop: Header=BB4_1193 Depth=2
	s_or_b32 exec_lo, exec_lo, s21
	s_trap 2
	ds_read_b64 v[9:10], v0
	s_waitcnt vmcnt(0) lgkmcnt(0)
	buffer_gl0_inv
	v_add_co_u32 v12, vcc_lo, v12, v87
	v_add_co_ci_u32_e64 v13, null, 0, v13, vcc_lo
	s_mov_b32 s21, exec_lo
	v_cmpx_lt_u64_e64 v[9:10], v[12:13]
	s_cbranch_execz .LBB4_1252
; %bb.1244:                             ;   in Loop: Header=BB4_1193 Depth=2
	s_mov_b32 s22, 0
	s_mov_b32 s73, 0
                                        ; implicit-def: $sgpr24
                                        ; implicit-def: $sgpr27
	s_inst_prefetch 0x1
	s_branch .LBB4_1246
	.p2align	6
.LBB4_1245:                             ;   in Loop: Header=BB4_1246 Depth=3
	s_or_b32 exec_lo, exec_lo, s75
	s_and_b32 s74, exec_lo, s76
	s_or_b32 s22, s74, s22
	s_andn2_b32 s24, s24, exec_lo
	s_and_b32 s74, s27, exec_lo
	s_or_b32 s24, s24, s74
	s_andn2_b32 exec_lo, exec_lo, s22
	s_cbranch_execz .LBB4_1250
.LBB4_1246:                             ;   Parent Loop BB4_47 Depth=1
                                        ;     Parent Loop BB4_1193 Depth=2
                                        ; =>    This Inner Loop Header: Depth=3
	s_add_i32 s73, s73, 1
	s_cmpk_lg_i32 s73, 0x2710
	s_cselect_b32 s74, -1, 0
	s_and_b32 vcc_lo, exec_lo, s74
	s_cbranch_vccz .LBB4_1248
; %bb.1247:                             ;   in Loop: Header=BB4_1246 Depth=3
	s_mov_b32 s76, -1
	s_or_b32 s27, s27, exec_lo
	s_and_saveexec_b32 s75, s74
	s_cbranch_execz .LBB4_1245
	s_branch .LBB4_1249
	.p2align	6
.LBB4_1248:                             ;   in Loop: Header=BB4_1246 Depth=3
	s_trap 2
	ds_read_b64 v[9:10], v0
	s_andn2_b32 s74, s74, exec_lo
	s_mov_b32 s73, 0
	s_waitcnt lgkmcnt(0)
	s_waitcnt_vscnt null, 0x0
	flat_load_dword v2, v[9:10] glc dlc
	s_waitcnt vmcnt(0) lgkmcnt(0)
	buffer_gl1_inv
	buffer_gl0_inv
	v_cmp_eq_u32_e32 vcc_lo, 0, v2
	s_and_b32 s75, vcc_lo, exec_lo
	s_or_b32 s74, s74, s75
	s_mov_b32 s76, -1
	s_or_b32 s27, s27, exec_lo
	s_and_saveexec_b32 s75, s74
	s_cbranch_execz .LBB4_1245
.LBB4_1249:                             ;   in Loop: Header=BB4_1246 Depth=3
	s_sleep 1
	s_trap 2
	ds_read_b64 v[9:10], v0
	s_waitcnt lgkmcnt(0)
	buffer_gl0_inv
	s_andn2_b32 s27, s27, exec_lo
	v_cmp_ge_u64_e32 vcc_lo, v[9:10], v[12:13]
	s_orn2_b32 s76, vcc_lo, exec_lo
	s_branch .LBB4_1245
.LBB4_1250:                             ;   in Loop: Header=BB4_1193 Depth=2
	s_inst_prefetch 0x2
	s_or_b32 exec_lo, exec_lo, s22
	s_and_saveexec_b32 s22, s24
	s_xor_b32 s22, exec_lo, s22
	s_cbranch_execz .LBB4_1252
; %bb.1251:                             ;   in Loop: Header=BB4_1193 Depth=2
	ds_write_b32 v0, v98
	s_trap 2
.LBB4_1252:                             ;   in Loop: Header=BB4_1193 Depth=2
	s_or_b32 exec_lo, exec_lo, s21
	;;#ASMSTART
	s_wakeup
	;;#ASMEND
.LBB4_1253:                             ;   in Loop: Header=BB4_1193 Depth=2
	s_or_b32 exec_lo, exec_lo, s20
.LBB4_1254:                             ;   in Loop: Header=BB4_1193 Depth=2
	s_andn2_saveexec_b32 s19, s19
	s_cbranch_execz .LBB4_1256
; %bb.1255:                             ;   in Loop: Header=BB4_1193 Depth=2
	;;#ASMSTART
	s_waitcnt lgkmcnt(0) vmcnt(0)
	;;#ASMEND
	s_barrier
.LBB4_1256:                             ;   in Loop: Header=BB4_1193 Depth=2
	s_or_b32 exec_lo, exec_lo, s19
.LBB4_1257:                             ;   in Loop: Header=BB4_1193 Depth=2
	s_or_b32 exec_lo, exec_lo, s16
	v_and_b32_e32 v2, 32, v85
	s_mov_b32 s16, exec_lo
	v_cmpx_ne_u32_e32 0, v2
	s_cbranch_execz .LBB4_1192
; %bb.1258:                             ;   in Loop: Header=BB4_1193 Depth=2
	v_add_co_u32 v36, vcc_lo, v36, 2
	v_add_co_ci_u32_e64 v37, null, 0, v37, vcc_lo
	s_waitcnt vmcnt(0) lgkmcnt(0)
	s_waitcnt_vscnt null, 0x0
	flat_store_dwordx2 v[20:21], v[36:37]
	s_branch .LBB4_1192
.LBB4_1259:
	s_or_b32 exec_lo, exec_lo, s63
.LBB4_1260:
	s_or_b32 exec_lo, exec_lo, s40
	v_and_b32_e32 v0, 0x800, v85
	s_mov_b32 s5, exec_lo
	v_cmpx_eq_u32_e32 0, v0
	s_cbranch_execz .LBB4_1293
; %bb.1261:
	v_and_b32_e32 v0, 48, v85
	s_mov_b32 s4, exec_lo
	v_cmpx_ne_u32_e32 0, v0
	s_cbranch_execz .LBB4_1263
; %bb.1262:
	flat_store_dwordx2 v[18:19], v[36:37] offset:104
.LBB4_1263:
	s_or_b32 exec_lo, exec_lo, s4
	v_and_b32_e32 v0, 0x88, v85
	s_mov_b32 s6, exec_lo
	v_cmpx_eq_u32_e32 0x88, v0
	s_cbranch_execz .LBB4_1273
; %bb.1264:
	v_add_nc_u32_e32 v0, 6, v36
	s_mov_b32 s7, 0
	v_and_b32_e32 v0, 7, v0
	v_mad_u64_u32 v[2:3], null, v0, 24, v[6:7]
	v_and_b32_e32 v0, 64, v85
	v_cmp_eq_u32_e64 s4, 0, v0
	flat_load_dwordx2 v[4:5], v[2:3] offset:8 glc dlc
	s_waitcnt vmcnt(0) lgkmcnt(0)
	v_cmp_ne_u64_e32 vcc_lo, -1, v[4:5]
	s_and_b32 s4, vcc_lo, s4
	s_and_b32 exec_lo, exec_lo, s4
	s_cbranch_execz .LBB4_1273
; %bb.1265:
	s_mov_b32 s11, 0
                                        ; implicit-def: $sgpr4
                                        ; implicit-def: $sgpr10
	s_inst_prefetch 0x1
	s_branch .LBB4_1268
	.p2align	6
.LBB4_1266:                             ;   in Loop: Header=BB4_1268 Depth=1
	flat_load_dwordx2 v[4:5], v[2:3] offset:8 glc dlc
	s_waitcnt vmcnt(0)
	s_andn2_b32 s10, s10, exec_lo
	s_waitcnt lgkmcnt(0)
	v_cmp_eq_u64_e32 vcc_lo, -1, v[4:5]
	s_orn2_b32 s13, vcc_lo, exec_lo
.LBB4_1267:                             ;   in Loop: Header=BB4_1268 Depth=1
	s_or_b32 exec_lo, exec_lo, s14
	s_and_b32 s12, exec_lo, s13
	s_or_b32 s7, s12, s7
	s_andn2_b32 s4, s4, exec_lo
	s_and_b32 s12, s10, exec_lo
	s_or_b32 s4, s4, s12
	s_andn2_b32 exec_lo, exec_lo, s7
	s_cbranch_execz .LBB4_1271
.LBB4_1268:                             ; =>This Inner Loop Header: Depth=1
	s_cmpk_lt_i32 s11, 0x270f
	s_cselect_b32 s12, -1, 0
	s_and_b32 vcc_lo, exec_lo, s12
	s_cbranch_vccnz .LBB4_1270
; %bb.1269:                             ;   in Loop: Header=BB4_1268 Depth=1
	s_trap 2
	ds_read_b64 v[4:5], v0
	s_andn2_b32 s12, s12, exec_lo
	s_mov_b32 s11, 0
	s_waitcnt lgkmcnt(0)
	s_waitcnt_vscnt null, 0x0
	flat_load_dword v0, v[4:5] glc dlc
	s_waitcnt vmcnt(0) lgkmcnt(0)
	buffer_gl1_inv
	buffer_gl0_inv
	v_cmp_eq_u32_e32 vcc_lo, 0, v0
	s_and_b32 s13, vcc_lo, exec_lo
	s_or_b32 s12, s12, s13
	s_mov_b32 s13, -1
	s_or_b32 s10, s10, exec_lo
	s_and_saveexec_b32 s14, s12
	s_cbranch_execz .LBB4_1267
	s_branch .LBB4_1266
	.p2align	6
.LBB4_1270:                             ;   in Loop: Header=BB4_1268 Depth=1
	s_add_i32 s11, s11, 1
                                        ; implicit-def: $vgpr0
	s_mov_b32 s13, -1
	s_or_b32 s10, s10, exec_lo
	s_and_saveexec_b32 s14, s12
	s_cbranch_execz .LBB4_1267
	s_branch .LBB4_1266
.LBB4_1271:
	s_inst_prefetch 0x2
	s_or_b32 exec_lo, exec_lo, s7
	s_and_saveexec_b32 s7, s4
	s_xor_b32 s7, exec_lo, s7
	s_cbranch_execz .LBB4_1273
; %bb.1272:
	s_waitcnt_vscnt null, 0x0
	ds_write_b32 v0, v0
	s_trap 2
.LBB4_1273:
	s_or_b32 exec_lo, exec_lo, s6
	v_and_b32_e32 v0, 0x2000, v85
	s_mov_b32 s4, exec_lo
	v_cmpx_ne_u32_e32 0, v0
	s_cbranch_execz .LBB4_1275
; %bb.1274:
	s_trap 2
	ds_read_b64 v[2:3], v0
	s_waitcnt lgkmcnt(0)
	flat_store_dwordx2 v[16:17], v[2:3] offset:16
.LBB4_1275:
	s_or_b32 exec_lo, exec_lo, s4
	v_cmp_ne_u32_e32 vcc_lo, 32, v1
	s_and_b32 exec_lo, exec_lo, vcc_lo
	s_cbranch_execz .LBB4_1293
; %bb.1276:
	s_waitcnt vmcnt(0)
	v_cmp_ne_u32_sdwa s4, v1, v84 src0_sel:DWORD src1_sel:WORD_0
	s_and_saveexec_b32 s6, s4
	s_xor_b32 s4, exec_lo, s6
	s_cbranch_execz .LBB4_1291
; %bb.1277:
	v_and_b32_e32 v0, 31, v31
	s_mov_b32 s6, exec_lo
	v_cmpx_eq_u32_e32 0, v0
	s_cbranch_execz .LBB4_1290
; %bb.1278:
	s_mov_b32 s10, exec_lo
	s_mov_b32 s7, exec_lo
	v_mbcnt_lo_u32_b32 v0, s10, 0
	s_waitcnt lgkmcnt(0)
	s_waitcnt_vscnt null, 0x0
	buffer_gl1_inv
	buffer_gl0_inv
	v_cmpx_eq_u32_e32 0, v0
	s_cbranch_execz .LBB4_1280
; %bb.1279:
	s_bcnt1_i32_b32 s10, s10
	v_mov_b32_e32 v3, 0
	v_mov_b32_e32 v2, s10
	ds_add_u64 v0, v[2:3]
	s_trap 2
.LBB4_1280:
	s_or_b32 exec_lo, exec_lo, s7
	s_trap 2
	ds_read_b64 v[2:3], v0
	s_waitcnt lgkmcnt(0)
	buffer_gl0_inv
	v_lshrrev_b32_e32 v0, 5, v1
	s_mov_b32 s7, exec_lo
	v_add_co_u32 v0, vcc_lo, v12, v0
	v_add_co_ci_u32_e64 v1, null, 0, v13, vcc_lo
	v_cmpx_lt_u64_e64 v[2:3], v[0:1]
	s_cbranch_execz .LBB4_1289
; %bb.1281:
	s_mov_b32 s10, 0
	s_mov_b32 s13, 0
                                        ; implicit-def: $sgpr11
                                        ; implicit-def: $sgpr12
	s_inst_prefetch 0x1
	s_branch .LBB4_1283
	.p2align	6
.LBB4_1282:                             ;   in Loop: Header=BB4_1283 Depth=1
	s_or_b32 exec_lo, exec_lo, s15
	s_and_b32 s14, exec_lo, s16
	s_or_b32 s10, s14, s10
	s_andn2_b32 s11, s11, exec_lo
	s_and_b32 s14, s12, exec_lo
	s_or_b32 s11, s11, s14
	s_andn2_b32 exec_lo, exec_lo, s10
	s_cbranch_execz .LBB4_1287
.LBB4_1283:                             ; =>This Inner Loop Header: Depth=1
	s_add_i32 s13, s13, 1
	s_cmpk_lg_i32 s13, 0x2710
	s_cselect_b32 s14, -1, 0
	s_and_b32 vcc_lo, exec_lo, s14
	s_cbranch_vccz .LBB4_1285
; %bb.1284:                             ;   in Loop: Header=BB4_1283 Depth=1
	s_mov_b32 s16, -1
	s_or_b32 s12, s12, exec_lo
	s_and_saveexec_b32 s15, s14
	s_cbranch_execz .LBB4_1282
	s_branch .LBB4_1286
.LBB4_1285:                             ;   in Loop: Header=BB4_1283 Depth=1
	s_trap 2
	ds_read_b64 v[2:3], v0
	s_andn2_b32 s14, s14, exec_lo
	s_mov_b32 s13, 0
	s_waitcnt lgkmcnt(0)
	flat_load_dword v2, v[2:3] glc dlc
	s_waitcnt vmcnt(0) lgkmcnt(0)
	buffer_gl1_inv
	buffer_gl0_inv
	v_cmp_eq_u32_e32 vcc_lo, 0, v2
	s_and_b32 s15, vcc_lo, exec_lo
	s_or_b32 s14, s14, s15
	s_mov_b32 s16, -1
	s_or_b32 s12, s12, exec_lo
	s_and_saveexec_b32 s15, s14
	s_cbranch_execz .LBB4_1282
.LBB4_1286:                             ;   in Loop: Header=BB4_1283 Depth=1
	s_sleep 1
	s_trap 2
	ds_read_b64 v[2:3], v0
	s_waitcnt lgkmcnt(0)
	buffer_gl0_inv
	s_andn2_b32 s12, s12, exec_lo
	v_cmp_ge_u64_e32 vcc_lo, v[2:3], v[0:1]
	s_orn2_b32 s16, vcc_lo, exec_lo
	s_branch .LBB4_1282
.LBB4_1287:
	s_inst_prefetch 0x2
	s_or_b32 exec_lo, exec_lo, s10
	s_and_saveexec_b32 s10, s11
	s_xor_b32 s10, exec_lo, s10
	s_cbranch_execz .LBB4_1289
; %bb.1288:
	v_mov_b32_e32 v0, 1
	ds_write_b32 v0, v0
	s_trap 2
.LBB4_1289:
	s_or_b32 exec_lo, exec_lo, s7
	;;#ASMSTART
	s_wakeup
	;;#ASMEND
.LBB4_1290:
	s_or_b32 exec_lo, exec_lo, s6
.LBB4_1291:
	s_andn2_saveexec_b32 s4, s4
	s_cbranch_execz .LBB4_1293
; %bb.1292:
	s_waitcnt lgkmcnt(0)
	s_waitcnt_vscnt null, 0x0
	buffer_gl1_inv
	buffer_gl0_inv
	s_barrier
.LBB4_1293:
	s_or_b32 exec_lo, exec_lo, s5
.LBB4_1294:
	s_andn2_saveexec_b32 s25, s28
	s_cbranch_execz .LBB4_1296
; %bb.1295:
	s_getpc_b64 s[4:5]
	s_add_u32 s4, s4, __PRETTY_FUNCTION__._ZN10PrimitivesIm14FuncSumPostDivImE12FanSymmetricILi1EELi0E11ProtoSimpleILi2ELi2ELi0ELi2ELi0ELi0EELi0ELb0ELi0ELi0ELi0EEC2EiiPKiS8_PKvPvmhhhP15ncclDevWorkCollP14ncclDevWorkP2pii@rel32@lo+4
	s_addc_u32 s5, s5, __PRETTY_FUNCTION__._ZN10PrimitivesIm14FuncSumPostDivImE12FanSymmetricILi1EELi0E11ProtoSimpleILi2ELi2ELi0ELi2ELi0ELi0EELi0ELb0ELi0ELi0ELi0EEC2EiiPKiS8_PKvPvmhhhP15ncclDevWorkCollP14ncclDevWorkP2pii@rel32@hi+12
	v_mov_b32_e32 v0, s4
	v_mov_b32_e32 v1, s5
	s_getpc_b64 s[6:7]
	s_add_u32 s6, s6, __assert_fail@rel32@lo+4
	s_addc_u32 s7, s7, __assert_fail@rel32@hi+12
	s_swappc_b64 s[30:31], s[6:7]
	; divergent unreachable
.LBB4_1296:
	s_or_b32 exec_lo, exec_lo, s25
	s_clause 0x1c
	buffer_load_dword v92, off, s[0:3], s33
	buffer_load_dword v91, off, s[0:3], s33 offset:4
	buffer_load_dword v90, off, s[0:3], s33 offset:8
	;; [unrolled: 1-line block ×28, first 2 shown]
	v_readlane_b32 s30, v93, 0
	v_readlane_b32 s31, v93, 1
	s_mov_b32 s32, s33
	s_or_saveexec_b32 s4, -1
	buffer_load_dword v93, off, s[0:3], s33 offset:116 ; 4-byte Folded Reload
	s_mov_b32 exec_lo, s4
	s_mov_b32 s33, s90
	s_waitcnt vmcnt(0) lgkmcnt(0)
	s_setpc_b64 s[30:31]
.Lfunc_end4:
	.size	_ZN12_GLOBAL__N_17runRingIm14FuncSumPostDivImE11ProtoSimpleILi2ELi2ELi0ELi2ELi0ELi0EELi0ELi0ELi2ELi0EEEviiP15ncclDevWorkColl, .Lfunc_end4-_ZN12_GLOBAL__N_17runRingIm14FuncSumPostDivImE11ProtoSimpleILi2ELi2ELi0ELi2ELi0ELi0EELi0ELi0ELi2ELi0EEEviiP15ncclDevWorkColl
                                        ; -- End function
	.set .L_ZN12_GLOBAL__N_17runRingIm14FuncSumPostDivImE11ProtoSimpleILi2ELi2ELi0ELi2ELi0ELi0EELi0ELi0ELi2ELi0EEEviiP15ncclDevWorkColl.num_vgpr, max(120, .L__assert_fail.num_vgpr)
	.set .L_ZN12_GLOBAL__N_17runRingIm14FuncSumPostDivImE11ProtoSimpleILi2ELi2ELi0ELi2ELi0ELi0EELi0ELi0ELi2ELi0EEEviiP15ncclDevWorkColl.num_agpr, max(0, .L__assert_fail.num_agpr)
	.set .L_ZN12_GLOBAL__N_17runRingIm14FuncSumPostDivImE11ProtoSimpleILi2ELi2ELi0ELi2ELi0ELi0EELi0ELi0ELi2ELi0EEEviiP15ncclDevWorkColl.numbered_sgpr, max(91, .L__assert_fail.numbered_sgpr)
	.set .L_ZN12_GLOBAL__N_17runRingIm14FuncSumPostDivImE11ProtoSimpleILi2ELi2ELi0ELi2ELi0ELi0EELi0ELi0ELi2ELi0EEEviiP15ncclDevWorkColl.num_named_barrier, max(0, .L__assert_fail.num_named_barrier)
	.set .L_ZN12_GLOBAL__N_17runRingIm14FuncSumPostDivImE11ProtoSimpleILi2ELi2ELi0ELi2ELi0ELi0EELi0ELi0ELi2ELi0EEEviiP15ncclDevWorkColl.private_seg_size, 128+max(.L__assert_fail.private_seg_size)
	.set .L_ZN12_GLOBAL__N_17runRingIm14FuncSumPostDivImE11ProtoSimpleILi2ELi2ELi0ELi2ELi0ELi0EELi0ELi0ELi2ELi0EEEviiP15ncclDevWorkColl.uses_vcc, or(1, .L__assert_fail.uses_vcc)
	.set .L_ZN12_GLOBAL__N_17runRingIm14FuncSumPostDivImE11ProtoSimpleILi2ELi2ELi0ELi2ELi0ELi0EELi0ELi0ELi2ELi0EEEviiP15ncclDevWorkColl.uses_flat_scratch, or(1, .L__assert_fail.uses_flat_scratch)
	.set .L_ZN12_GLOBAL__N_17runRingIm14FuncSumPostDivImE11ProtoSimpleILi2ELi2ELi0ELi2ELi0ELi0EELi0ELi0ELi2ELi0EEEviiP15ncclDevWorkColl.has_dyn_sized_stack, or(0, .L__assert_fail.has_dyn_sized_stack)
	.set .L_ZN12_GLOBAL__N_17runRingIm14FuncSumPostDivImE11ProtoSimpleILi2ELi2ELi0ELi2ELi0ELi0EELi0ELi0ELi2ELi0EEEviiP15ncclDevWorkColl.has_recursion, or(1, .L__assert_fail.has_recursion)
	.set .L_ZN12_GLOBAL__N_17runRingIm14FuncSumPostDivImE11ProtoSimpleILi2ELi2ELi0ELi2ELi0ELi0EELi0ELi0ELi2ELi0EEEviiP15ncclDevWorkColl.has_indirect_call, or(0, .L__assert_fail.has_indirect_call)
	.section	.AMDGPU.csdata,"",@progbits
; Function info:
; codeLenInByte = 71368
; TotalNumSgprs: 93
; NumVgprs: 120
; ScratchSize: 192
; MemoryBound: 1
	.text
	.p2align	2                               ; -- Begin function _Z54ncclDevFunc_AllReduce_RING_SIMPLE_SumPostDiv_u64_0_0_2v
	.type	_Z54ncclDevFunc_AllReduce_RING_SIMPLE_SumPostDiv_u64_0_0_2v,@function
_Z54ncclDevFunc_AllReduce_RING_SIMPLE_SumPostDiv_u64_0_0_2v: ; @_Z54ncclDevFunc_AllReduce_RING_SIMPLE_SumPostDiv_u64_0_0_2v
; %bb.0:
	s_waitcnt vmcnt(0) expcnt(0) lgkmcnt(0)
	s_mov_b32 vcc_hi, s33
	s_mov_b32 s33, s32
	s_or_saveexec_b32 s4, -1
	buffer_store_dword v43, off, s[0:3], s33 offset:16 ; 4-byte Folded Spill
	s_mov_b32 exec_lo, s4
	s_addk_i32 s32, 0x400
	buffer_store_dword v40, off, s[0:3], s33 offset:12 ; 4-byte Folded Spill
	buffer_store_dword v41, off, s[0:3], s33 offset:8 ; 4-byte Folded Spill
	;; [unrolled: 1-line block ×3, first 2 shown]
	buffer_store_dword v93, off, s[0:3], s33 ; 4-byte Folded Spill
	v_writelane_b32 v43, s30, 0
	v_writelane_b32 v43, s31, 1
	s_trap 2
	ds_read_b32 v0, v0
	v_mov_b32_e32 v40, v31
	s_mov_b32 s91, s12
	s_mov_b64 s[92:93], s[8:9]
	s_mov_b32 s4, exec_lo
	v_and_b32_e32 v41, 0x3ff, v40
	s_waitcnt lgkmcnt(0)
	v_cmpx_lt_i32_e64 v41, v0
	s_cbranch_execz .LBB5_5
; %bb.1:
	s_load_dword s5, s[92:93], 0x0
	v_mov_b32_e32 v1, 0
	v_mov_b32_e32 v3, v41
                                        ; implicit-def: $vgpr4
	s_waitcnt lgkmcnt(0)
	s_cmp_lt_u32 s91, s5
	s_cselect_b32 s5, 12, 18
	s_add_u32 s6, s92, s5
	s_addc_u32 s7, s93, 0
	s_mov_b32 s5, 0
	global_load_ushort v1, v1, s[6:7]
	s_trap 2
	ds_read_b32 v2, v0
	s_waitcnt vmcnt(0) lgkmcnt(0)
	v_mul_lo_u32 v2, v2, v1
	s_branch .LBB5_3
	.p2align	6
.LBB5_2:                                ;   in Loop: Header=BB5_3 Depth=1
	s_or_b32 exec_lo, exec_lo, s6
	v_add_nc_u32_e32 v3, v3, v1
	v_add_nc_u32_e32 v4, v4, v2
	v_cmp_ge_i32_e32 vcc_lo, v3, v0
	s_or_b32 s5, vcc_lo, s5
	s_andn2_b32 exec_lo, exec_lo, s5
	s_cbranch_execz .LBB5_5
.LBB5_3:                                ; =>This Inner Loop Header: Depth=1
	ds_read_b32 v5, v4
	s_mov_b32 s6, exec_lo
	s_waitcnt lgkmcnt(0)
	v_and_b32_e32 v5, 0x1000000, v5
	v_cmpx_ne_u32_e32 0, v5
	s_cbranch_execz .LBB5_2
; %bb.4:                                ;   in Loop: Header=BB5_3 Depth=1
	ds_read_b64 v[5:6], v4 offset:104
	s_waitcnt lgkmcnt(0)
	flat_load_dwordx2 v[5:6], v[5:6]
	s_waitcnt vmcnt(0) lgkmcnt(0)
	ds_write_b64 v4, v[5:6] offset:104
	s_branch .LBB5_2
.LBB5_5:
	s_or_b32 exec_lo, exec_lo, s4
	s_waitcnt lgkmcnt(0)
	s_waitcnt_vscnt null, 0x0
	s_barrier
	buffer_gl0_inv
	s_trap 2
	ds_read_b32 v0, v0
	s_waitcnt lgkmcnt(0)
	v_cmp_gt_i32_e32 vcc_lo, 1, v0
	s_cbranch_vccnz .LBB5_13
; %bb.6:
	v_mov_b32_e32 v42, 5
	s_mov_b32 s94, 0
	s_inst_prefetch 0x1
	s_branch .LBB5_8
	.p2align	6
.LBB5_7:                                ;   in Loop: Header=BB5_8 Depth=1
	s_or_b32 exec_lo, exec_lo, s95
	s_trap 2
	ds_read_b32 v0, v0
	s_add_i32 s94, s94, 1
	s_waitcnt lgkmcnt(0)
	v_cmp_lt_i32_e32 vcc_lo, s94, v0
	s_cbranch_vccz .LBB5_13
.LBB5_8:                                ; =>This Inner Loop Header: Depth=1
	s_trap 2
	ds_read_b32 v0, v0
	s_cmp_eq_u32 s94, 0
	s_cbranch_scc1 .LBB5_11
; %bb.9:                                ;   in Loop: Header=BB5_8 Depth=1
	s_trap 2
	s_waitcnt lgkmcnt(0)
	ds_read_b32 v1, v0
	s_waitcnt lgkmcnt(0)
	v_xor_b32_e32 v1, v1, v0
	v_and_b32_e32 v1, 0xff0000, v1
	v_cmp_eq_u32_e32 vcc_lo, 0, v1
	s_cbranch_vccnz .LBB5_11
; %bb.10:                               ;   in Loop: Header=BB5_8 Depth=1
	s_barrier
	buffer_gl0_inv
	ds_read_b32 v0, v0
.LBB5_11:                               ;   in Loop: Header=BB5_8 Depth=1
	s_waitcnt lgkmcnt(0)
	v_lshlrev_b32_sdwa v1, v42, v0 dst_sel:DWORD dst_unused:UNUSED_PAD src0_sel:DWORD src1_sel:BYTE_2
	s_mov_b32 s95, exec_lo
	v_cmpx_lt_u32_e64 v41, v1
	s_cbranch_execz .LBB5_7
; %bb.12:                               ;   in Loop: Header=BB5_8 Depth=1
	s_mov_b64 s[4:5], src_shared_base
	v_mov_b32_e32 v31, v40
	v_mov_b32_e32 v0, v41
	;; [unrolled: 1-line block ×3, first 2 shown]
	s_getpc_b64 s[6:7]
	s_add_u32 s6, s6, _ZN12_GLOBAL__N_17runRingIm14FuncSumPostDivImE11ProtoSimpleILi2ELi2ELi0ELi2ELi0ELi0EELi0ELi0ELi2ELi0EEEviiP15ncclDevWorkColl@rel32@lo+4
	s_addc_u32 s7, s7, _ZN12_GLOBAL__N_17runRingIm14FuncSumPostDivImE11ProtoSimpleILi2ELi2ELi0ELi2ELi0ELi0EELi0ELi0ELi2ELi0EEEviiP15ncclDevWorkColl@rel32@hi+12
	s_mov_b64 s[8:9], s[92:93]
	s_mov_b32 s12, s91
	s_swappc_b64 s[30:31], s[6:7]
	s_branch .LBB5_7
.LBB5_13:
	s_inst_prefetch 0x2
	s_clause 0x3
	buffer_load_dword v93, off, s[0:3], s33
	buffer_load_dword v42, off, s[0:3], s33 offset:4
	buffer_load_dword v41, off, s[0:3], s33 offset:8
	;; [unrolled: 1-line block ×3, first 2 shown]
	v_readlane_b32 s30, v43, 0
	v_readlane_b32 s31, v43, 1
	s_mov_b32 s32, s33
	s_or_saveexec_b32 s4, -1
	buffer_load_dword v43, off, s[0:3], s33 offset:16 ; 4-byte Folded Reload
	s_mov_b32 exec_lo, s4
	s_mov_b32 s33, vcc_hi
	s_waitcnt vmcnt(0)
	s_setpc_b64 s[30:31]
.Lfunc_end5:
	.size	_Z54ncclDevFunc_AllReduce_RING_SIMPLE_SumPostDiv_u64_0_0_2v, .Lfunc_end5-_Z54ncclDevFunc_AllReduce_RING_SIMPLE_SumPostDiv_u64_0_0_2v
                                        ; -- End function
	.set .L_Z54ncclDevFunc_AllReduce_RING_SIMPLE_SumPostDiv_u64_0_0_2v.num_vgpr, max(94, .L_ZN12_GLOBAL__N_17runRingIm14FuncSumPostDivImE11ProtoSimpleILi2ELi2ELi0ELi2ELi0ELi0EELi0ELi0ELi2ELi0EEEviiP15ncclDevWorkColl.num_vgpr)
	.set .L_Z54ncclDevFunc_AllReduce_RING_SIMPLE_SumPostDiv_u64_0_0_2v.num_agpr, max(0, .L_ZN12_GLOBAL__N_17runRingIm14FuncSumPostDivImE11ProtoSimpleILi2ELi2ELi0ELi2ELi0ELi0EELi0ELi0ELi2ELi0EEEviiP15ncclDevWorkColl.num_agpr)
	.set .L_Z54ncclDevFunc_AllReduce_RING_SIMPLE_SumPostDiv_u64_0_0_2v.numbered_sgpr, max(96, .L_ZN12_GLOBAL__N_17runRingIm14FuncSumPostDivImE11ProtoSimpleILi2ELi2ELi0ELi2ELi0ELi0EELi0ELi0ELi2ELi0EEEviiP15ncclDevWorkColl.numbered_sgpr)
	.set .L_Z54ncclDevFunc_AllReduce_RING_SIMPLE_SumPostDiv_u64_0_0_2v.num_named_barrier, max(0, .L_ZN12_GLOBAL__N_17runRingIm14FuncSumPostDivImE11ProtoSimpleILi2ELi2ELi0ELi2ELi0ELi0EELi0ELi0ELi2ELi0EEEviiP15ncclDevWorkColl.num_named_barrier)
	.set .L_Z54ncclDevFunc_AllReduce_RING_SIMPLE_SumPostDiv_u64_0_0_2v.private_seg_size, 32+max(.L_ZN12_GLOBAL__N_17runRingIm14FuncSumPostDivImE11ProtoSimpleILi2ELi2ELi0ELi2ELi0ELi0EELi0ELi0ELi2ELi0EEEviiP15ncclDevWorkColl.private_seg_size)
	.set .L_Z54ncclDevFunc_AllReduce_RING_SIMPLE_SumPostDiv_u64_0_0_2v.uses_vcc, or(1, .L_ZN12_GLOBAL__N_17runRingIm14FuncSumPostDivImE11ProtoSimpleILi2ELi2ELi0ELi2ELi0ELi0EELi0ELi0ELi2ELi0EEEviiP15ncclDevWorkColl.uses_vcc)
	.set .L_Z54ncclDevFunc_AllReduce_RING_SIMPLE_SumPostDiv_u64_0_0_2v.uses_flat_scratch, or(0, .L_ZN12_GLOBAL__N_17runRingIm14FuncSumPostDivImE11ProtoSimpleILi2ELi2ELi0ELi2ELi0ELi0EELi0ELi0ELi2ELi0EEEviiP15ncclDevWorkColl.uses_flat_scratch)
	.set .L_Z54ncclDevFunc_AllReduce_RING_SIMPLE_SumPostDiv_u64_0_0_2v.has_dyn_sized_stack, or(0, .L_ZN12_GLOBAL__N_17runRingIm14FuncSumPostDivImE11ProtoSimpleILi2ELi2ELi0ELi2ELi0ELi0EELi0ELi0ELi2ELi0EEEviiP15ncclDevWorkColl.has_dyn_sized_stack)
	.set .L_Z54ncclDevFunc_AllReduce_RING_SIMPLE_SumPostDiv_u64_0_0_2v.has_recursion, or(1, .L_ZN12_GLOBAL__N_17runRingIm14FuncSumPostDivImE11ProtoSimpleILi2ELi2ELi0ELi2ELi0ELi0EELi0ELi0ELi2ELi0EEEviiP15ncclDevWorkColl.has_recursion)
	.set .L_Z54ncclDevFunc_AllReduce_RING_SIMPLE_SumPostDiv_u64_0_0_2v.has_indirect_call, or(0, .L_ZN12_GLOBAL__N_17runRingIm14FuncSumPostDivImE11ProtoSimpleILi2ELi2ELi0ELi2ELi0ELi0EELi0ELi0ELi2ELi0EEEviiP15ncclDevWorkColl.has_indirect_call)
	.section	.AMDGPU.csdata,"",@progbits
; Function info:
; codeLenInByte = 728
; TotalNumSgprs: 98
; NumVgprs: 120
; ScratchSize: 224
; MemoryBound: 0
	.text
	.p2align	2                               ; -- Begin function _ZN12_GLOBAL__N_17runRingIm14FuncSumPostDivImE11ProtoSimpleILi2ELi2ELi0ELi4ELi0ELi0EELi0ELi0ELi4ELi0EEEviiP15ncclDevWorkColl
	.type	_ZN12_GLOBAL__N_17runRingIm14FuncSumPostDivImE11ProtoSimpleILi2ELi2ELi0ELi4ELi0ELi0EELi0ELi0ELi4ELi0EEEviiP15ncclDevWorkColl,@function
_ZN12_GLOBAL__N_17runRingIm14FuncSumPostDivImE11ProtoSimpleILi2ELi2ELi0ELi4ELi0ELi0EELi0ELi0ELi4ELi0EEEviiP15ncclDevWorkColl: ; @_ZN12_GLOBAL__N_17runRingIm14FuncSumPostDivImE11ProtoSimpleILi2ELi2ELi0ELi4ELi0ELi0EELi0ELi0ELi4ELi0EEEviiP15ncclDevWorkColl
; %bb.0:
	s_waitcnt vmcnt(0) expcnt(0) lgkmcnt(0)
	s_mov_b32 s92, s33
	s_mov_b32 s33, s32
	s_or_saveexec_b32 s4, -1
	buffer_store_dword v127, off, s[0:3], s33 offset:196 ; 4-byte Folded Spill
	s_mov_b32 exec_lo, s4
	s_addk_i32 s32, 0x1a00
	buffer_store_dword v40, off, s[0:3], s33 offset:184 ; 4-byte Folded Spill
	buffer_store_dword v41, off, s[0:3], s33 offset:180 ; 4-byte Folded Spill
	;; [unrolled: 1-line block ×46, first 2 shown]
	buffer_store_dword v126, off, s[0:3], s33 ; 4-byte Folded Spill
	v_writelane_b32 v127, s30, 0
	v_writelane_b32 v127, s31, 1
	s_trap 2
	flat_load_dword v9, v[2:3]
	ds_read_b32 v6, v0
                                        ; implicit-def: $vgpr14_vgpr15
                                        ; implicit-def: $vgpr28_vgpr29
                                        ; implicit-def: $vgpr4_vgpr5
	s_waitcnt lgkmcnt(0)
	v_readfirstlane_b32 s43, v6
	s_waitcnt vmcnt(0)
	v_cmp_ne_u32_sdwa s4, v6, v9 src0_sel:DWORD src1_sel:BYTE_0
	s_and_saveexec_b32 s5, s4
	s_xor_b32 s4, exec_lo, s5
	s_cbranch_execz .LBB6_6
; %bb.1:
	v_not_b32_sdwa v8, v9 dst_sel:DWORD dst_unused:UNUSED_PAD src0_sel:BYTE_0
	v_cmp_ne_u32_sdwa s5, v6, v9 src0_sel:DWORD src1_sel:BYTE_1
                                        ; implicit-def: $vgpr14_vgpr15
                                        ; implicit-def: $vgpr28_vgpr29
                                        ; implicit-def: $vgpr4_vgpr5
	s_and_saveexec_b32 s6, s5
	s_xor_b32 s5, exec_lo, s6
	s_cbranch_execz .LBB6_3
; %bb.2:
	s_clause 0x1
	flat_load_dwordx4 v[9:12], v[2:3] offset:72
	flat_load_dwordx2 v[4:5], v[2:3] offset:96
	v_add_nc_u32_e32 v6, v6, v8
                                        ; implicit-def: $vgpr8
	v_ashrrev_i32_e32 v7, 31, v6
	s_waitcnt vmcnt(1) lgkmcnt(1)
	v_mul_lo_u32 v7, v11, v7
	v_mad_u64_u32 v[28:29], null, v11, v6, v[9:10]
	v_mul_lo_u32 v6, v12, v6
	s_waitcnt vmcnt(0) lgkmcnt(0)
	v_lshrrev_b64 v[14:15], 15, v[4:5]
	v_mov_b32_e32 v4, v11
	v_mov_b32_e32 v5, v12
                                        ; implicit-def: $vgpr9
	v_add3_u32 v29, v6, v29, v7
.LBB6_3:
	s_andn2_saveexec_b32 s5, s5
	s_cbranch_execz .LBB6_5
; %bb.4:
	s_clause 0x1
	flat_load_dwordx4 v[10:13], v[2:3] offset:72
	flat_load_dwordx4 v[4:7], v[2:3] offset:88
	s_waitcnt vmcnt(0) lgkmcnt(0)
	v_add_nc_u32_sdwa v6, v9, v8 dst_sel:DWORD dst_unused:UNUSED_PAD src0_sel:BYTE_1 src1_sel:DWORD
	v_ashrrev_i32_e32 v8, 31, v6
	v_mul_lo_u32 v8, v12, v8
	v_mad_u64_u32 v[28:29], null, v12, v6, v[10:11]
	v_mul_lo_u32 v6, v13, v6
	v_lshrrev_b32_e32 v14, 4, v7
	v_add3_u32 v29, v6, v29, v8
.LBB6_5:
	s_or_b32 exec_lo, exec_lo, s5
.LBB6_6:
	s_andn2_saveexec_b32 s4, s4
	s_cbranch_execz .LBB6_8
; %bb.7:
	s_clause 0x1
	flat_load_dwordx2 v[6:7], v[2:3] offset:96
	flat_load_dwordx2 v[4:5], v[2:3] offset:72
	v_mov_b32_e32 v28, 0
	v_mov_b32_e32 v29, 0
	s_waitcnt vmcnt(1) lgkmcnt(1)
	v_lshlrev_b64 v[14:15], 6, v[6:7]
.LBB6_8:
	s_or_b32 exec_lo, exec_lo, s4
	s_trap 2
	ds_read_b64 v[6:7], v0
	s_mov_b32 s5, exec_lo
	s_waitcnt lgkmcnt(0)
	v_cmp_ne_u32_e32 vcc_lo, -1, v6
	v_cndmask_b32_e64 v19, 0, 1, vcc_lo
	v_cmp_ne_u32_e32 vcc_lo, -1, v7
	v_add_co_ci_u32_e64 v8, null, 0, v19, vcc_lo
	v_lshlrev_b32_e32 v6, 1, v8
	v_cmpx_le_u32_e64 v6, v1
	s_xor_b32 s42, exec_lo, s5
	s_cbranch_execz .LBB6_1294
; %bb.9:
	s_clause 0x3
	flat_load_dwordx4 v[10:13], v[2:3] offset:16
	flat_load_dwordx2 v[15:16], v[2:3] offset:104
	flat_load_ushort v7, v[2:3] offset:8
	flat_load_dword v6, v[2:3] offset:4
	s_trap 2
	s_load_dword s4, s[8:9], 0x0
	v_mov_b32_e32 v9, 0
	v_mov_b32_e32 v78, 4
	s_waitcnt lgkmcnt(0)
	s_cmp_lt_u32 s12, s4
	s_cselect_b32 s4, 12, 18
	s_add_u32 s4, s8, s4
	s_addc_u32 s5, s9, 0
	global_load_ushort v30, v9, s[4:5]
	ds_read_b32 v9, v0
	s_mov_b32 s5, exec_lo
	s_waitcnt lgkmcnt(0)
	v_readfirstlane_b32 s11, v9
	v_cmpx_ge_u32_e64 v0, v19
	s_cbranch_execz .LBB6_19
; %bb.10:
	v_cmp_ge_u32_e64 s4, v0, v8
                                        ; implicit-def: $vgpr78
	s_and_saveexec_b32 s6, s4
	s_xor_b32 s4, exec_lo, s6
	s_cbranch_execz .LBB6_16
; %bb.11:
	v_cndmask_b32_e64 v9, 0, 1, vcc_lo
	s_mov_b32 s6, exec_lo
	v_sub_nc_u32_e32 v9, v1, v9
	v_cmpx_ge_u32_e64 v0, v9
	s_xor_b32 s6, exec_lo, s6
; %bb.12:
                                        ; implicit-def: $vgpr8
; %bb.13:
	s_or_saveexec_b32 s6, s6
	v_mov_b32_e32 v78, 16
	s_xor_b32 exec_lo, exec_lo, s6
; %bb.14:
	v_sub_nc_u32_e32 v8, v1, v8
	v_cmp_lt_i32_e32 vcc_lo, v0, v8
	v_cndmask_b32_e64 v78, 32, 0, vcc_lo
; %bb.15:
	s_or_b32 exec_lo, exec_lo, s6
.LBB6_16:
	s_andn2_saveexec_b32 s4, s4
; %bb.17:
	v_mov_b32_e32 v78, 8
; %bb.18:
	s_or_b32 exec_lo, exec_lo, s4
.LBB6_19:
	s_or_b32 exec_lo, exec_lo, s5
	v_and_b32_e32 v8, 36, v78
	v_cmp_ne_u32_e32 vcc_lo, 0, v8
	v_mov_b32_e32 v8, -1
	s_and_saveexec_b32 s4, vcc_lo
	s_cbranch_execz .LBB6_21
; %bb.20:
	s_trap 2
	ds_read_b32 v8, v0
.LBB6_21:
	s_or_b32 exec_lo, exec_lo, s4
	v_and_b32_e32 v9, 24, v78
	s_mov_b32 s5, exec_lo
	v_cmpx_ne_u32_e32 0, v9
	s_cbranch_execz .LBB6_23
; %bb.22:
	s_trap 2
	s_waitcnt lgkmcnt(0)
	ds_read_b32 v8, v0
.LBB6_23:
	s_or_b32 exec_lo, exec_lo, s5
	s_waitcnt vmcnt(1)
	v_lshrrev_b64 v[17:18], 31, v[6:7]
	v_mov_b32_e32 v54, 0
	v_mov_b32_e32 v6, 0
	;; [unrolled: 1-line block ×4, first 2 shown]
                                        ; implicit-def: $vgpr79
                                        ; implicit-def: $vgpr96_vgpr97
                                        ; implicit-def: $vgpr66_vgpr67
                                        ; implicit-def: $vgpr80_vgpr81
                                        ; implicit-def: $vgpr64_vgpr65
	v_and_b32_e32 v20, 3, v17
                                        ; implicit-def: $vgpr17_vgpr18
                                        ; kill: killed $vgpr17_vgpr18
	s_and_saveexec_b32 s4, vcc_lo
	s_cbranch_execz .LBB6_33
; %bb.24:
	s_trap 2
	ds_read_b64 v[6:7], v0
	s_waitcnt lgkmcnt(1)
	v_ashrrev_i32_e32 v9, 31, v8
	v_lshlrev_b64 v[17:18], 3, v[8:9]
	v_and_b32_e32 v9, 0xffff, v20
	s_waitcnt lgkmcnt(0)
	v_add_co_u32 v6, vcc_lo, v6, v17
	v_add_co_ci_u32_e64 v7, null, v7, v18, vcc_lo
	flat_load_dwordx2 v[6:7], v[6:7]
	s_waitcnt vmcnt(0) lgkmcnt(0)
	v_mad_u64_u32 v[17:18], null, 0xa8, v9, v[6:7]
	flat_load_dword v6, v[17:18] offset:640
	s_waitcnt vmcnt(0) lgkmcnt(0)
	v_cmp_eq_u32_e32 vcc_lo, 1, v6
                                        ; implicit-def: $vgpr6_vgpr7
                                        ; kill: killed $vgpr6_vgpr7
	s_and_saveexec_b32 s5, vcc_lo
	s_cbranch_execz .LBB6_26
; %bb.25:
	flat_load_dwordx2 v[21:22], v[17:18] offset:648
	v_or_b32_e32 v78, 0x2000, v78
	s_waitcnt vmcnt(0) lgkmcnt(0)
	flat_load_dwordx2 v[6:7], v[21:22]
	s_trap 2
	s_waitcnt vmcnt(0) lgkmcnt(0)
	ds_write_b64 v0, v[6:7]
	flat_load_dwordx2 v[6:7], v[21:22] offset:8
	s_waitcnt vmcnt(0) lgkmcnt(0)
	ds_write_b64 v0, v[6:7]
	buffer_store_dword v21, off, s[0:3], s33 offset:188 ; 4-byte Folded Spill
	buffer_store_dword v22, off, s[0:3], s33 offset:192 ; 4-byte Folded Spill
	flat_load_dwordx2 v[6:7], v[21:22] offset:16
	s_waitcnt vmcnt(0) lgkmcnt(0)
	ds_write_b64 v0, v[6:7]
.LBB6_26:
	s_or_b32 exec_lo, exec_lo, s5
	flat_load_dwordx2 v[6:7], v[17:18] offset:608
	v_and_b32_e32 v9, 32, v78
	s_mov_b32 s5, exec_lo
                                        ; implicit-def: $vgpr64_vgpr65
	s_waitcnt vmcnt(0) lgkmcnt(0)
	v_add_co_u32 v6, vcc_lo, v6, 3
	v_add_co_ci_u32_e64 v97, null, 0, v7, vcc_lo
	v_and_b32_e32 v96, -4, v6
	v_cmpx_ne_u32_e32 0, v9
	s_cbranch_execz .LBB6_28
; %bb.27:
	flat_load_dwordx2 v[64:65], v[17:18] offset:560
	s_waitcnt vmcnt(0) lgkmcnt(0)
	s_waitcnt_vscnt null, 0x0
	flat_store_dwordx2 v[64:65], v[96:97]
.LBB6_28:
	s_or_b32 exec_lo, exec_lo, s5
	v_add_co_u32 v54, vcc_lo, 0x1f8, v17
	v_mov_b32_e32 v6, 0
	v_and_b32_e32 v9, 4, v78
	v_add_co_ci_u32_e64 v55, null, 0, v18, vcc_lo
	v_mov_b32_e32 v7, 0
	s_mov_b32 s5, exec_lo
                                        ; implicit-def: $vgpr79
                                        ; implicit-def: $vgpr66_vgpr67
                                        ; implicit-def: $vgpr80_vgpr81
	v_cmpx_ne_u32_e32 0, v9
	s_cbranch_execz .LBB6_32
; %bb.29:
	v_and_b32_e32 v6, 0x800, v78
	s_mov_b32 s6, exec_lo
	v_cmpx_eq_u32_e32 0, v6
	s_cbranch_execz .LBB6_31
; %bb.30:
	s_trap 2
	ds_write_b64 v0, v[54:55]
.LBB6_31:
	s_or_b32 exec_lo, exec_lo, s6
	flat_load_dwordx2 v[64:65], v[17:18] offset:552
	s_waitcnt vmcnt(0) lgkmcnt(0)
	flat_load_dwordx2 v[80:81], v[64:65] glc dlc
	s_clause 0x2
	flat_load_dword v9, v[17:18] offset:576
	flat_load_dwordx2 v[6:7], v[17:18] offset:600
	flat_load_dwordx2 v[66:67], v[17:18] offset:520
	v_or_b32_e32 v17, 0x100, v78
	s_waitcnt vmcnt(2) lgkmcnt(2)
	v_ashrrev_i32_e32 v79, 3, v9
	s_waitcnt vmcnt(1) lgkmcnt(1)
	v_cmp_eq_u64_e32 vcc_lo, 0, v[6:7]
	v_cndmask_b32_e32 v78, v17, v78, vcc_lo
.LBB6_32:
	s_or_b32 exec_lo, exec_lo, s5
.LBB6_33:
	s_or_b32 exec_lo, exec_lo, s4
	v_and_b32_e32 v9, 24, v78
	s_mov_b32 s4, exec_lo
                                        ; implicit-def: $vgpr68_vgpr69
	v_cmpx_ne_u32_e32 0, v9
	s_cbranch_execz .LBB6_41
; %bb.34:
	s_trap 2
	ds_read_b64 v[6:7], v0
	s_waitcnt lgkmcnt(1)
	v_ashrrev_i32_e32 v9, 31, v8
	v_or_b32_e32 v17, 0x100, v78
	s_mov_b32 s5, exec_lo
                                        ; implicit-def: $vgpr68_vgpr69
	v_lshlrev_b64 v[8:9], 3, v[8:9]
	s_waitcnt lgkmcnt(0)
	v_add_co_u32 v6, vcc_lo, v6, v8
	v_add_co_ci_u32_e64 v7, null, v7, v9, vcc_lo
	v_and_b32_e32 v8, 0xffff, v20
	flat_load_dwordx2 v[6:7], v[6:7]
	s_waitcnt vmcnt(0) lgkmcnt(0)
	v_mad_u64_u32 v[54:55], null, 0xa8, v8, v[6:7]
	flat_load_dwordx4 v[6:9], v[54:55] offset:96
	s_waitcnt vmcnt(0) lgkmcnt(0)
	v_cmp_eq_u64_e32 vcc_lo, 0, v[6:7]
	v_cndmask_b32_e32 v78, v17, v78, vcc_lo
	v_and_b32_e32 v17, 16, v78
	v_cmpx_ne_u32_e32 0, v17
	s_cbranch_execz .LBB6_36
; %bb.35:
	s_clause 0x2
	flat_load_dwordx2 v[64:65], v[54:55] offset:48
	flat_load_dwordx2 v[68:69], v[54:55] offset:120
	flat_load_dwordx2 v[66:67], v[54:55] offset:16
.LBB6_36:
	s_or_b32 exec_lo, exec_lo, s5
	v_add_co_u32 v8, vcc_lo, v8, 3
	v_and_b32_e32 v17, 8, v78
	v_add_co_ci_u32_e64 v97, null, 0, v9, vcc_lo
	v_and_b32_e32 v96, -4, v8
	s_mov_b32 s5, exec_lo
	v_cmpx_ne_u32_e32 0, v17
	s_cbranch_execz .LBB6_40
; %bb.37:
	v_and_b32_e32 v8, 0x800, v78
	s_mov_b32 s6, exec_lo
	v_cmpx_eq_u32_e32 0, v8
	s_cbranch_execz .LBB6_39
; %bb.38:
	s_trap 2
	ds_write_b64 v0, v[54:55]
.LBB6_39:
	s_or_b32 exec_lo, exec_lo, s6
	s_waitcnt vmcnt(2) lgkmcnt(2)
	flat_load_dwordx2 v[64:65], v[54:55] offset:56
	s_waitcnt vmcnt(0) lgkmcnt(0)
	flat_load_dwordx2 v[80:81], v[64:65] glc dlc
	s_clause 0x1
	flat_load_dword v8, v[54:55] offset:72
	flat_load_dwordx2 v[66:67], v[54:55] offset:16
	s_waitcnt vmcnt(1) lgkmcnt(1)
	v_ashrrev_i32_e32 v79, 3, v8
.LBB6_40:
	s_or_b32 exec_lo, exec_lo, s5
.LBB6_41:
	s_or_b32 exec_lo, exec_lo, s4
	v_cmp_eq_u32_e64 s4, 0, v0
	s_and_saveexec_b32 s5, s4
	s_cbranch_execz .LBB6_43
; %bb.42:
	s_waitcnt lgkmcnt(0)
	flat_load_dwordx2 v[8:9], v[2:3] offset:32
	ds_write2_b64 v0, v[12:13], v[10:11] offset1:1
	s_trap 2
	s_waitcnt vmcnt(0) lgkmcnt(1)
	ds_write_b64 v0, v[8:9]
	ds_write_b64 v0, v[15:16]
.LBB6_43:
	s_or_b32 exec_lo, exec_lo, s5
	v_mov_b32_e32 v70, 0
	v_mov_b32_e32 v71, 0
	s_mov_b32 s44, exec_lo
	v_cmpx_lt_i64_e32 0, v[4:5]
	s_cbranch_execz .LBB6_1260
; %bb.44:
	s_waitcnt lgkmcnt(0)
	flat_load_dword v8, v[2:3] offset:4
	s_ashr_i32 s12, s11, 31
	v_lshrrev_b32_e32 v89, 5, v1
	s_lshr_b32 s12, s12, 29
	v_lshlrev_b32_e32 v10, 3, v1
	v_mov_b32_e32 v3, 0
	s_add_i32 s15, s11, s12
	v_and_b32_e32 v2, 0x7ffffc0, v14
	s_ashr_i32 s45, s43, 31
	v_lshlrev_b32_e32 v104, 9, v89
	s_ashr_i32 s15, s15, 6
	s_add_u32 s47, s43, -1
	v_and_b32_e32 v106, 0xff00, v10
	s_addc_u32 s56, s45, -1
	s_add_i32 s57, s43, s43
	s_not_b32 s16, s43
	v_mov_b32_e32 v87, v3
	s_cmp_gt_i32 s43, 0
	v_mad_i64_i32 v[84:85], null, v2, s43, 0
	v_mov_b32_e32 v86, v2
	v_add_nc_u32_e32 v109, 0xfffffe00, v104
	s_cselect_b32 s16, s16, -1
	s_lshr_b32 s17, s15, 28
	v_add_nc_u32_e32 v110, 0xffffff00, v106
	s_add_i32 s15, s15, s17
	v_and_b32_e32 v9, 31, v31
	v_and_b32_e32 v90, 31, v0
	s_add_i32 s58, s16, s57
	s_ashr_i32 s60, s15, 4
	s_ashr_i32 s59, s58, 31
	v_ashrrev_i32_e32 v120, 31, v109
	s_cmp_gt_i32 s43, 2
	v_ashrrev_i32_e32 v121, 31, v110
	v_lshrrev_b32_e32 v91, 5, v0
	v_cmp_eq_u32_e64 s11, 0, v9
	v_lshlrev_b32_e32 v9, 4, v90
	s_cselect_b32 s61, -1, 0
	s_add_i32 s17, s43, 1
	v_add_co_u32 v122, s16, 0x200, v109
	v_add_co_ci_u32_e64 v123, null, 0, v120, s16
	v_add_co_u32 v124, s16, 0x100, v110
	v_cmp_ge_u32_e32 vcc_lo, v0, v1
	v_mov_b32_e32 v82, 0
	s_waitcnt vmcnt(2)
	v_cmp_eq_u64_e64 s7, 0, v[68:69]
	v_cmp_ne_u64_e64 s10, 0, v[68:69]
	v_mov_b32_e32 v70, 0
	v_add_co_ci_u32_e64 v125, null, 0, v121, s16
	v_ashrrev_i32_e32 v88, 31, v79
	v_cmp_eq_u32_e64 s5, 32, v1
	v_cmp_ne_u32_e64 s6, 32, v1
	s_waitcnt vmcnt(1)
	v_cmp_ne_u32_sdwa s46, v1, v30 src0_sel:DWORD src1_sel:WORD_0
	v_mov_b32_e32 v83, 0
	v_mov_b32_e32 v92, 1
	;; [unrolled: 1-line block ×5, first 2 shown]
	v_cmp_eq_u32_e64 s12, 0, v90
	v_cmp_lt_u32_e64 s13, v90, v19
	v_lshlrev_b32_e32 v95, 12, v89
	v_lshlrev_b32_e32 v105, 10, v89
	v_cmp_le_u32_e64 s14, v90, v19
	v_lshlrev_b32_e32 v107, 11, v89
	v_lshl_or_b32 v108, v91, 11, v9
	v_lshl_or_b32 v111, v91, 12, v9
	s_mov_b32 s27, 0
	s_brev_b32 s29, 1
	s_mov_b32 s75, 0
	s_trap 2
	s_waitcnt vmcnt(0) lgkmcnt(0)
	v_and_b32_e32 v2, 1, v8
	v_cmp_eq_u32_e64 s15, 1, v2
	s_xor_b32 s62, s15, -1
	s_cmp_ge_i32 s17, s43
	s_cselect_b32 s16, s43, 0
	s_add_i32 s63, s43, -2
	s_sub_i32 s73, s17, s16
	s_xor_b32 s72, vcc_lo, -1
	s_ashr_i32 s40, s45, 31
	s_sub_i32 s74, 0, s43
	s_ashr_i32 s76, s73, 31
	s_branch .LBB6_47
.LBB6_45:                               ;   in Loop: Header=BB6_47 Depth=1
	s_or_b32 exec_lo, exec_lo, s18
.LBB6_46:                               ;   in Loop: Header=BB6_47 Depth=1
	s_or_b32 exec_lo, exec_lo, s17
	v_add_co_u32 v82, vcc_lo, v82, v84
	v_add_co_ci_u32_e64 v83, null, v83, v85, vcc_lo
	v_cmp_ge_i64_e32 vcc_lo, v[82:83], v[4:5]
	s_or_b32 s75, vcc_lo, s75
	s_andn2_b32 exec_lo, exec_lo, s75
	s_cbranch_execz .LBB6_1259
.LBB6_47:                               ; =>This Loop Header: Depth=1
                                        ;     Child Loop BB6_57 Depth 2
                                        ;       Child Loop BB6_65 Depth 3
                                        ;       Child Loop BB6_89 Depth 3
	;; [unrolled: 1-line block ×9, first 2 shown]
                                        ;     Child Loop BB6_199 Depth 2
                                        ;       Child Loop BB6_205 Depth 3
                                        ;       Child Loop BB6_229 Depth 3
	;; [unrolled: 1-line block ×3, first 2 shown]
                                        ;     Child Loop BB6_273 Depth 2
                                        ;       Child Loop BB6_276 Depth 3
                                        ;         Child Loop BB6_284 Depth 4
                                        ;         Child Loop BB6_312 Depth 4
	;; [unrolled: 1-line block ×9, first 2 shown]
                                        ;       Child Loop BB6_422 Depth 3
                                        ;         Child Loop BB6_428 Depth 4
                                        ;         Child Loop BB6_456 Depth 4
	;; [unrolled: 1-line block ×3, first 2 shown]
                                        ;     Child Loop BB6_497 Depth 2
                                        ;       Child Loop BB6_505 Depth 3
                                        ;       Child Loop BB6_533 Depth 3
	;; [unrolled: 1-line block ×5, first 2 shown]
                                        ;         Child Loop BB6_597 Depth 4
                                        ;       Child Loop BB6_611 Depth 3
                                        ;       Child Loop BB6_621 Depth 3
                                        ;         Child Loop BB6_622 Depth 4
                                        ;       Child Loop BB6_642 Depth 3
                                        ;       Child Loop BB6_652 Depth 3
	;; [unrolled: 1-line block ×6, first 2 shown]
                                        ;     Child Loop BB6_722 Depth 2
                                        ;       Child Loop BB6_728 Depth 3
                                        ;       Child Loop BB6_756 Depth 3
	;; [unrolled: 1-line block ×3, first 2 shown]
                                        ;     Child Loop BB6_797 Depth 2
                                        ;       Child Loop BB6_800 Depth 3
                                        ;         Child Loop BB6_808 Depth 4
                                        ;         Child Loop BB6_836 Depth 4
	;; [unrolled: 1-line block ×5, first 2 shown]
                                        ;           Child Loop BB6_888 Depth 5
                                        ;         Child Loop BB6_895 Depth 4
                                        ;         Child Loop BB6_900 Depth 4
                                        ;           Child Loop BB6_901 Depth 5
                                        ;         Child Loop BB6_913 Depth 4
                                        ;         Child Loop BB6_918 Depth 4
	;; [unrolled: 1-line block ×6, first 2 shown]
                                        ;       Child Loop BB6_977 Depth 3
                                        ;         Child Loop BB6_983 Depth 4
                                        ;         Child Loop BB6_1011 Depth 4
	;; [unrolled: 1-line block ×3, first 2 shown]
                                        ;     Child Loop BB6_1055 Depth 2
                                        ;       Child Loop BB6_1063 Depth 3
                                        ;       Child Loop BB6_1087 Depth 3
                                        ;       Child Loop BB6_1106 Depth 3
                                        ;       Child Loop BB6_1132 Depth 3
                                        ;       Child Loop BB6_1137 Depth 3
                                        ;       Child Loop BB6_1143 Depth 3
                                        ;       Child Loop BB6_1148 Depth 3
                                        ;       Child Loop BB6_1157 Depth 3
                                        ;       Child Loop BB6_1176 Depth 3
                                        ;     Child Loop BB6_1193 Depth 2
                                        ;       Child Loop BB6_1199 Depth 3
                                        ;       Child Loop BB6_1223 Depth 3
	;; [unrolled: 1-line block ×3, first 2 shown]
	v_sub_co_u32 v98, vcc_lo, v4, v82
	v_sub_co_ci_u32_e64 v99, null, v5, v83, vcc_lo
	s_mov_b32 s17, exec_lo
	v_cmpx_lt_i64_e64 v[98:99], v[84:85]
	s_cbranch_execz .LBB6_53
; %bb.48:                               ;   in Loop: Header=BB6_47 Depth=1
	v_add_co_u32 v2, vcc_lo, s47, v98
	v_add_co_ci_u32_e64 v10, null, s56, v99, vcc_lo
	v_mov_b32_e32 v8, v3
	v_or_b32_e32 v9, s45, v10
	v_cmp_ne_u64_e32 vcc_lo, 0, v[8:9]
                                        ; implicit-def: $vgpr8_vgpr9
	s_and_saveexec_b32 s16, vcc_lo
	s_xor_b32 s20, exec_lo, s16
	s_cbranch_execz .LBB6_50
; %bb.49:                               ;   in Loop: Header=BB6_47 Depth=1
	s_add_u32 s18, s43, s40
	s_mov_b32 s41, s40
	s_addc_u32 s19, s45, s40
	v_ashrrev_i32_e32 v14, 31, v10
	s_xor_b64 s[18:19], s[18:19], s[40:41]
	v_cvt_f32_u32_e32 v8, s18
	v_cvt_f32_u32_e32 v9, s19
	s_sub_u32 s16, 0, s18
	s_subb_u32 s23, 0, s19
	v_add_co_u32 v2, vcc_lo, v2, v14
	v_fmac_f32_e32 v8, 0x4f800000, v9
	v_xor_b32_e32 v2, v2, v14
	v_rcp_f32_e32 v8, v8
	v_mul_f32_e32 v8, 0x5f7ffffc, v8
	v_mul_f32_e32 v9, 0x2f800000, v8
	v_trunc_f32_e32 v9, v9
	v_fmac_f32_e32 v8, 0xcf800000, v9
	v_cvt_u32_f32_e32 v9, v9
	v_cvt_u32_f32_e32 v8, v8
	v_readfirstlane_b32 s21, v9
	v_readfirstlane_b32 s22, v8
	s_mul_i32 s24, s16, s21
	v_add_co_ci_u32_e64 v8, null, v10, v14, vcc_lo
	s_mul_hi_u32 s26, s16, s22
	s_mul_i32 s25, s23, s22
	s_add_i32 s24, s26, s24
	s_mul_i32 s28, s16, s22
	s_add_i32 s24, s24, s25
	s_mul_hi_u32 s26, s22, s28
	s_mul_i32 s77, s22, s24
	s_mul_hi_u32 s41, s21, s28
	s_mul_i32 s25, s21, s28
	s_mul_hi_u32 s28, s22, s24
	s_add_u32 s26, s26, s77
	s_addc_u32 s28, 0, s28
	s_mul_hi_u32 s78, s21, s24
	s_add_u32 s25, s26, s25
	s_mul_i32 s24, s21, s24
	s_addc_u32 s25, s28, s41
	s_addc_u32 s26, s78, 0
	s_add_u32 s24, s25, s24
	s_addc_u32 s25, 0, s26
	s_add_u32 s22, s22, s24
	s_cselect_b32 s24, -1, 0
	s_mul_hi_u32 s26, s16, s22
	s_cmp_lg_u32 s24, 0
	s_mul_i32 s24, s16, s22
	s_addc_u32 s21, s21, s25
	s_mul_i32 s23, s23, s22
	s_mul_i32 s16, s16, s21
	s_mul_hi_u32 s25, s22, s24
	s_add_i32 s16, s26, s16
	s_mul_hi_u32 s26, s21, s24
	s_add_i32 s16, s16, s23
	s_mul_i32 s23, s21, s24
	s_mul_i32 s41, s22, s16
	s_mul_hi_u32 s28, s22, s16
	s_add_u32 s25, s25, s41
	s_addc_u32 s28, 0, s28
	s_mul_hi_u32 s24, s21, s16
	s_add_u32 s23, s25, s23
	s_mul_i32 s16, s21, s16
	s_addc_u32 s23, s28, s26
	s_addc_u32 s24, s24, 0
	s_add_u32 s16, s23, s16
	s_addc_u32 s23, 0, s24
	s_add_u32 s16, s22, s16
	s_cselect_b32 s22, -1, 0
	v_xor_b32_e32 v15, v8, v14
	s_cmp_lg_u32 s22, 0
	v_mul_hi_u32 v16, v2, s16
	s_addc_u32 s21, s21, s23
	v_mad_u64_u32 v[8:9], null, v2, s21, 0
	v_mad_u64_u32 v[10:11], null, v15, s16, 0
	;; [unrolled: 1-line block ×3, first 2 shown]
	v_add_co_u32 v8, vcc_lo, v16, v8
	v_add_co_ci_u32_e64 v9, null, 0, v9, vcc_lo
	v_add_co_u32 v8, vcc_lo, v8, v10
	v_add_co_ci_u32_e32 v8, vcc_lo, v9, v11, vcc_lo
	v_add_co_ci_u32_e32 v9, vcc_lo, 0, v13, vcc_lo
	v_add_co_u32 v10, vcc_lo, v8, v12
	v_add_co_ci_u32_e64 v11, null, 0, v9, vcc_lo
	v_mul_lo_u32 v12, s19, v10
	v_mad_u64_u32 v[8:9], null, s18, v10, 0
	v_mul_lo_u32 v13, s18, v11
	v_sub_co_u32 v2, vcc_lo, v2, v8
	v_add3_u32 v9, v9, v13, v12
	v_sub_nc_u32_e32 v12, v15, v9
	v_sub_co_ci_u32_e64 v9, null, v15, v9, vcc_lo
	v_subrev_co_ci_u32_e64 v8, null, s19, v12, vcc_lo
	v_add_co_u32 v12, s16, v10, 2
	v_add_co_ci_u32_e64 v13, null, 0, v11, s16
	v_sub_co_u32 v16, s16, v2, s18
	v_subrev_co_ci_u32_e64 v8, null, 0, v8, s16
	v_cmp_le_u32_e32 vcc_lo, s18, v16
	v_cndmask_b32_e64 v15, 0, -1, vcc_lo
	v_cmp_le_u32_e32 vcc_lo, s19, v8
	v_cndmask_b32_e64 v16, 0, -1, vcc_lo
	;; [unrolled: 2-line block ×4, first 2 shown]
	v_cmp_eq_u32_e32 vcc_lo, s19, v8
	v_cndmask_b32_e32 v8, v16, v15, vcc_lo
	v_add_co_u32 v15, vcc_lo, v10, 1
	v_add_co_ci_u32_e64 v16, null, 0, v11, vcc_lo
	v_cmp_eq_u32_e32 vcc_lo, s19, v9
	v_xor_b32_e32 v9, s40, v14
	v_cndmask_b32_e32 v2, v17, v2, vcc_lo
	v_cmp_ne_u32_e32 vcc_lo, 0, v8
	v_cmp_ne_u32_e64 s16, 0, v2
	v_cndmask_b32_e32 v2, v15, v12, vcc_lo
	v_cndmask_b32_e32 v8, v16, v13, vcc_lo
	v_cndmask_b32_e64 v2, v10, v2, s16
	v_cndmask_b32_e64 v8, v11, v8, s16
	v_xor_b32_e32 v2, v2, v9
	v_xor_b32_e32 v10, v8, v9
	v_sub_co_u32 v8, vcc_lo, v2, v9
	v_sub_co_ci_u32_e64 v9, null, v10, v9, vcc_lo
                                        ; implicit-def: $vgpr2
.LBB6_50:                               ;   in Loop: Header=BB6_47 Depth=1
	s_andn2_saveexec_b32 s16, s20
	s_cbranch_execz .LBB6_52
; %bb.51:                               ;   in Loop: Header=BB6_47 Depth=1
	v_cvt_f32_u32_e32 v8, s43
	v_rcp_iflag_f32_e32 v8, v8
	v_mul_f32_e32 v8, 0x4f7ffffe, v8
	v_cvt_u32_f32_e32 v8, v8
	v_mul_lo_u32 v9, s74, v8
	v_mul_hi_u32 v9, v8, v9
	v_add_nc_u32_e32 v8, v8, v9
	v_mul_hi_u32 v8, v2, v8
	v_mul_lo_u32 v9, v8, s43
	v_sub_nc_u32_e32 v2, v2, v9
	v_add_nc_u32_e32 v9, 1, v8
	v_subrev_nc_u32_e32 v10, s43, v2
	v_cmp_le_u32_e32 vcc_lo, s43, v2
	v_cndmask_b32_e32 v2, v2, v10, vcc_lo
	v_cndmask_b32_e32 v8, v8, v9, vcc_lo
	v_cmp_le_u32_e32 vcc_lo, s43, v2
	v_add_nc_u32_e32 v9, 1, v8
	v_cndmask_b32_e32 v2, v8, v9, vcc_lo
	v_mov_b32_e32 v9, v3
	v_mov_b32_e32 v8, v2
.LBB6_52:                               ;   in Loop: Header=BB6_47 Depth=1
	s_or_b32 exec_lo, exec_lo, s16
	v_add_co_u32 v2, vcc_lo, v8, 1
	v_add_co_ci_u32_e64 v87, null, 0, v9, vcc_lo
	v_and_b32_e32 v86, -2, v2
.LBB6_53:                               ;   in Loop: Header=BB6_47 Depth=1
	s_or_b32 exec_lo, exec_lo, s17
	v_mul_lo_u32 v2, v87, s58
	v_mul_lo_u32 v8, v86, s59
	v_mad_u64_u32 v[11:12], null, v86, s58, 0
	v_mov_b32_e32 v10, 0
	v_add3_u32 v12, v12, v8, v2
	v_sub_co_u32 v8, vcc_lo, v98, v11
	v_sub_co_ci_u32_e64 v9, null, v99, v12, vcc_lo
	v_cmp_lt_i64_e32 vcc_lo, v[86:87], v[8:9]
	v_cndmask_b32_e32 v8, v8, v86, vcc_lo
	v_add_co_u32 v100, vcc_lo, v82, v28
	v_add_co_ci_u32_e64 v101, null, v83, v29, vcc_lo
	v_max_i32_e32 v22, 0, v8
	v_cmp_lt_i32_e32 vcc_lo, 0, v8
	v_add_nc_u32_e32 v2, 31, v22
	s_and_b32 s16, s72, vcc_lo
	v_lshrrev_b32_e32 v2, 1, v2
	v_and_b32_e32 v9, 0x3ffffff0, v2
	v_mov_b32_e32 v2, 0
	v_max_i32_e32 v8, s60, v9
	s_and_saveexec_b32 s18, s16
	s_cbranch_execz .LBB6_195
; %bb.54:                               ;   in Loop: Header=BB6_47 Depth=1
	v_lshlrev_b64 v[12:13], 3, v[11:12]
	v_mov_b32_e32 v10, 0
	s_mov_b32 s21, 1
	s_mov_b32 s20, -1
	s_mov_b32 s19, 0
	s_branch .LBB6_57
.LBB6_55:                               ;   in Loop: Header=BB6_57 Depth=2
	s_or_b32 exec_lo, exec_lo, s17
	v_add_co_u32 v96, vcc_lo, v96, 2
	v_add_co_ci_u32_e64 v97, null, 0, v97, vcc_lo
	s_waitcnt vmcnt(0) lgkmcnt(0)
	s_waitcnt_vscnt null, 0x0
	flat_store_dwordx2 v[64:65], v[96:97]
.LBB6_56:                               ;   in Loop: Header=BB6_57 Depth=2
	s_or_b32 exec_lo, exec_lo, s16
	v_add_nc_u32_e32 v10, v8, v10
	s_xor_b32 s16, s20, -1
	v_mov_b32_e32 v2, s21
	s_mov_b32 s20, 0
	s_mov_b32 s21, 2
	v_cmp_ge_i32_e32 vcc_lo, v10, v22
	s_or_b32 s16, s16, vcc_lo
	s_and_b32 s16, exec_lo, s16
	s_or_b32 s19, s16, s19
	s_andn2_b32 exec_lo, exec_lo, s19
	s_cbranch_execz .LBB6_194
.LBB6_57:                               ;   Parent Loop BB6_47 Depth=1
                                        ; =>  This Loop Header: Depth=2
                                        ;       Child Loop BB6_65 Depth 3
                                        ;       Child Loop BB6_89 Depth 3
	;; [unrolled: 1-line block ×9, first 2 shown]
	s_and_saveexec_b32 s16, s4
	s_cbranch_execz .LBB6_59
; %bb.58:                               ;   in Loop: Header=BB6_57 Depth=2
	s_trap 2
	ds_read_b64 v[14:15], v0
	v_lshlrev_b64 v[16:17], 3, v[100:101]
	v_ashrrev_i32_e32 v11, 31, v10
	s_waitcnt lgkmcnt(0)
	v_add_co_u32 v2, vcc_lo, v14, v16
	v_add_co_ci_u32_e64 v9, null, v15, v17, vcc_lo
	v_lshlrev_b64 v[14:15], 3, v[10:11]
	v_add_co_u32 v2, vcc_lo, v2, v12
	v_add_co_ci_u32_e64 v9, null, v9, v13, vcc_lo
	v_add_co_u32 v14, vcc_lo, v2, v14
	v_add_co_ci_u32_e64 v15, null, v9, v15, vcc_lo
	v_mov_b32_e32 v2, v3
	ds_write_b64 v0, v[14:15]
	ds_write_b64 v0, v[2:3]
.LBB6_59:                               ;   in Loop: Header=BB6_57 Depth=2
	s_or_b32 exec_lo, exec_lo, s16
	v_sub_nc_u32_e32 v2, v22, v10
	v_and_b32_e32 v9, 8, v78
	s_mov_b32 s17, exec_lo
	v_min_i32_e32 v8, v8, v2
	v_cmpx_ne_u32_e32 0, v9
	s_cbranch_execz .LBB6_81
; %bb.60:                               ;   in Loop: Header=BB6_57 Depth=2
	s_waitcnt vmcnt(0) lgkmcnt(1)
	v_add_co_u32 v16, vcc_lo, v80, 8
	v_add_co_ci_u32_e64 v17, null, 0, v81, vcc_lo
	v_add_co_u32 v14, vcc_lo, v96, 2
	v_add_co_ci_u32_e64 v15, null, 0, v97, vcc_lo
	s_mov_b32 s22, exec_lo
	v_cmpx_lt_u64_e64 v[16:17], v[14:15]
	s_cbranch_execz .LBB6_72
; %bb.61:                               ;   in Loop: Header=BB6_57 Depth=2
	v_and_b32_e32 v2, 64, v78
	s_mov_b32 s23, 0
	s_mov_b32 s28, 0
                                        ; implicit-def: $sgpr24
                                        ; implicit-def: $sgpr25
                                        ; implicit-def: $sgpr26
	v_cmp_eq_u32_e32 vcc_lo, 0, v2
	s_branch .LBB6_65
.LBB6_62:                               ;   in Loop: Header=BB6_65 Depth=3
	s_waitcnt vmcnt(0) lgkmcnt(0)
	v_add_co_u32 v16, s16, v80, 8
	v_add_co_ci_u32_e64 v17, null, 0, v81, s16
	s_or_b32 s78, s78, exec_lo
	v_cmp_ge_u64_e64 s16, v[16:17], v[14:15]
	s_orn2_b32 s77, s16, exec_lo
.LBB6_63:                               ;   in Loop: Header=BB6_65 Depth=3
	s_or_b32 exec_lo, exec_lo, s88
	s_andn2_b32 s16, s26, exec_lo
	s_and_b32 s26, s78, exec_lo
	s_andn2_b32 s25, s25, exec_lo
	s_and_b32 s77, s77, exec_lo
	s_or_b32 s26, s16, s26
	s_or_b32 s25, s25, s77
.LBB6_64:                               ;   in Loop: Header=BB6_65 Depth=3
	s_or_b32 exec_lo, exec_lo, s41
	s_and_b32 s16, exec_lo, s25
	s_or_b32 s23, s16, s23
	s_andn2_b32 s16, s24, exec_lo
	s_and_b32 s24, s26, exec_lo
	s_or_b32 s24, s16, s24
	s_andn2_b32 exec_lo, exec_lo, s23
	s_cbranch_execz .LBB6_69
.LBB6_65:                               ;   Parent Loop BB6_47 Depth=1
                                        ;     Parent Loop BB6_57 Depth=2
                                        ; =>    This Inner Loop Header: Depth=3
	s_sleep 1
	s_waitcnt vmcnt(0) lgkmcnt(0)
	flat_load_dwordx2 v[80:81], v[64:65] glc dlc
	s_or_b32 s26, s26, exec_lo
	s_or_b32 s25, s25, exec_lo
                                        ; implicit-def: $vgpr2
	s_and_saveexec_b32 s41, vcc_lo
	s_cbranch_execz .LBB6_64
; %bb.66:                               ;   in Loop: Header=BB6_65 Depth=3
	s_cmpk_lt_i32 s28, 0x270f
	s_mov_b32 s77, -1
	s_cselect_b32 s79, -1, 0
	s_cmpk_gt_i32 s28, 0x270e
	s_cbranch_scc0 .LBB6_68
; %bb.67:                               ;   in Loop: Header=BB6_65 Depth=3
	s_trap 2
	ds_read_b64 v[16:17], v0
	s_andn2_b32 s28, s79, exec_lo
	s_mov_b32 s78, 0
	s_waitcnt vmcnt(0) lgkmcnt(0)
	s_waitcnt_vscnt null, 0x0
	flat_load_dword v2, v[16:17] glc dlc
	s_waitcnt vmcnt(0) lgkmcnt(0)
	buffer_gl1_inv
	buffer_gl0_inv
	v_cmp_eq_u32_e64 s16, 0, v2
	s_and_b32 s16, s16, exec_lo
	s_or_b32 s79, s28, s16
	s_mov_b32 s28, 0
	s_and_saveexec_b32 s88, s79
	s_cbranch_execz .LBB6_63
	s_branch .LBB6_62
.LBB6_68:                               ;   in Loop: Header=BB6_65 Depth=3
	s_add_i32 s28, s28, 1
	s_mov_b32 s78, -1
                                        ; implicit-def: $vgpr2
	s_and_saveexec_b32 s88, s79
	s_cbranch_execz .LBB6_63
	s_branch .LBB6_62
.LBB6_69:                               ;   in Loop: Header=BB6_57 Depth=2
	s_or_b32 exec_lo, exec_lo, s23
	s_xor_b32 s16, s24, -1
	s_and_saveexec_b32 s23, s16
	s_xor_b32 s16, exec_lo, s23
	s_cbranch_execz .LBB6_71
; %bb.70:                               ;   in Loop: Header=BB6_57 Depth=2
	v_or_b32_e32 v78, 64, v78
	s_waitcnt vmcnt(0) lgkmcnt(0)
	s_waitcnt_vscnt null, 0x0
	ds_write_b32 v0, v2
	s_trap 2
.LBB6_71:                               ;   in Loop: Header=BB6_57 Depth=2
	s_or_b32 exec_lo, exec_lo, s16
.LBB6_72:                               ;   in Loop: Header=BB6_57 Depth=2
	s_or_b32 exec_lo, exec_lo, s22
	v_and_b32_e32 v2, 0x100, v78
	s_mov_b32 s22, 0
	s_mov_b32 s16, exec_lo
	;;#ASMSTART
	s_wakeup
	;;#ASMEND
                                        ; implicit-def: $vgpr16_vgpr17
	v_cmpx_ne_u32_e32 0, v2
	s_xor_b32 s16, exec_lo, s16
                                        ; implicit-def: $vgpr2
	s_cbranch_execz .LBB6_93
; %bb.73:                               ;   in Loop: Header=BB6_57 Depth=2
	v_and_b32_e32 v2, 7, v96
	v_ashrrev_i32_e32 v9, 31, v8
	s_mov_b32 s22, -1
	s_mov_b32 s23, exec_lo
	v_mad_u64_u32 v[18:19], null, v2, 24, v[6:7]
	v_lshlrev_b64 v[16:17], 3, v[8:9]
	flat_load_dword v11, v[18:19]
	flat_store_dwordx2 v[18:19], v[16:17] offset:8
                                        ; implicit-def: $vgpr16_vgpr17
	s_waitcnt vmcnt(0) lgkmcnt(1)
	v_cmpx_eq_u32_e32 1, v11
	s_cbranch_execz .LBB6_75
; %bb.74:                               ;   in Loop: Header=BB6_57 Depth=2
	flat_load_dword v16, v[18:19] offset:4 glc dlc
	s_xor_b32 s22, exec_lo, -1
	s_waitcnt vmcnt(0) lgkmcnt(0)
	v_ashrrev_i32_e32 v17, 31, v16
	v_lshrrev_b64 v[16:17], 3, v[16:17]
.LBB6_75:                               ;   in Loop: Header=BB6_57 Depth=2
	s_or_b32 exec_lo, exec_lo, s23
	s_and_b32 s22, s22, exec_lo
                                        ; implicit-def: $vgpr96_vgpr97
	s_andn2_saveexec_b32 s16, s16
	s_cbranch_execnz .LBB6_94
.LBB6_76:                               ;   in Loop: Header=BB6_57 Depth=2
	s_or_b32 exec_lo, exec_lo, s16
	s_and_saveexec_b32 s16, s22
.LBB6_77:                               ;   in Loop: Header=BB6_57 Depth=2
	v_mul_lo_u32 v9, v3, v79
	v_mul_lo_u32 v11, v2, v88
	v_mad_u64_u32 v[16:17], null, v2, v79, 0
	v_add3_u32 v17, v17, v11, v9
.LBB6_78:                               ;   in Loop: Header=BB6_57 Depth=2
	s_or_b32 exec_lo, exec_lo, s16
	v_lshlrev_b64 v[16:17], 3, v[16:17]
	v_and_b32_e32 v2, 0x2000, v78
	s_mov_b32 s16, exec_lo
	v_add_co_u32 v16, vcc_lo, v66, v16
	v_add_co_ci_u32_e64 v17, null, v67, v17, vcc_lo
	ds_write_b64 v0, v[16:17] offset:784
	v_cmpx_ne_u32_e32 0, v2
	s_cbranch_execz .LBB6_80
; %bb.79:                               ;   in Loop: Header=BB6_57 Depth=2
	ds_read_b64 v[16:17], v0 offset:872
	s_waitcnt lgkmcnt(0)
	v_add_co_u32 v16, vcc_lo, v16, 1
	v_add_co_ci_u32_e64 v17, null, 0, v17, vcc_lo
	ds_write_b64 v0, v[16:17] offset:872
.LBB6_80:                               ;   in Loop: Header=BB6_57 Depth=2
	s_or_b32 exec_lo, exec_lo, s16
	v_mov_b32_e32 v97, v15
	v_mov_b32_e32 v96, v14
.LBB6_81:                               ;   in Loop: Header=BB6_57 Depth=2
	s_or_b32 exec_lo, exec_lo, s17
	s_and_saveexec_b32 s16, s6
	s_cbranch_execz .LBB6_102
; %bb.82:                               ;   in Loop: Header=BB6_57 Depth=2
	s_and_saveexec_b32 s17, s46
	s_xor_b32 s17, exec_lo, s17
	s_cbranch_execz .LBB6_99
; %bb.83:                               ;   in Loop: Header=BB6_57 Depth=2
	s_and_saveexec_b32 s22, s11
	s_cbranch_execz .LBB6_98
; %bb.84:                               ;   in Loop: Header=BB6_57 Depth=2
	s_mov_b32 s24, exec_lo
	s_mov_b32 s23, exec_lo
	v_mbcnt_lo_u32_b32 v2, s24, 0
	s_waitcnt vmcnt(0) lgkmcnt(0)
	s_waitcnt_vscnt null, 0x0
	buffer_gl1_inv
	buffer_gl0_inv
	v_cmpx_eq_u32_e32 0, v2
	s_cbranch_execz .LBB6_86
; %bb.85:                               ;   in Loop: Header=BB6_57 Depth=2
	s_bcnt1_i32_b32 s24, s24
	v_mov_b32_e32 v2, s24
	ds_add_u64 v0, v[2:3]
	s_trap 2
.LBB6_86:                               ;   in Loop: Header=BB6_57 Depth=2
	s_or_b32 exec_lo, exec_lo, s23
	s_trap 2
	ds_read_b64 v[14:15], v0
	s_waitcnt lgkmcnt(0)
	buffer_gl0_inv
	v_add_co_u32 v70, vcc_lo, v70, v89
	v_add_co_ci_u32_e64 v71, null, 0, v71, vcc_lo
	s_mov_b32 s23, exec_lo
	v_cmpx_lt_u64_e64 v[14:15], v[70:71]
	s_cbranch_execz .LBB6_97
; %bb.87:                               ;   in Loop: Header=BB6_57 Depth=2
	s_mov_b32 s24, 0
	s_mov_b32 s28, 0
                                        ; implicit-def: $sgpr25
                                        ; implicit-def: $sgpr26
	s_inst_prefetch 0x1
	s_branch .LBB6_89
	.p2align	6
.LBB6_88:                               ;   in Loop: Header=BB6_89 Depth=3
	s_or_b32 exec_lo, exec_lo, s77
	s_and_b32 s41, exec_lo, s78
	s_or_b32 s24, s41, s24
	s_andn2_b32 s25, s25, exec_lo
	s_and_b32 s41, s26, exec_lo
	s_or_b32 s25, s25, s41
	s_andn2_b32 exec_lo, exec_lo, s24
	s_cbranch_execz .LBB6_95
.LBB6_89:                               ;   Parent Loop BB6_47 Depth=1
                                        ;     Parent Loop BB6_57 Depth=2
                                        ; =>    This Inner Loop Header: Depth=3
	s_add_i32 s28, s28, 1
	s_cmpk_lg_i32 s28, 0x2710
	s_cselect_b32 s41, -1, 0
	s_and_b32 vcc_lo, exec_lo, s41
	s_cbranch_vccz .LBB6_91
; %bb.90:                               ;   in Loop: Header=BB6_89 Depth=3
	s_mov_b32 s78, -1
	s_or_b32 s26, s26, exec_lo
	s_and_saveexec_b32 s77, s41
	s_cbranch_execz .LBB6_88
	s_branch .LBB6_92
	.p2align	6
.LBB6_91:                               ;   in Loop: Header=BB6_89 Depth=3
	s_trap 2
	ds_read_b64 v[14:15], v0
	s_andn2_b32 s41, s41, exec_lo
	s_mov_b32 s28, 0
	s_waitcnt lgkmcnt(0)
	flat_load_dword v2, v[14:15] glc dlc
	s_waitcnt vmcnt(0) lgkmcnt(0)
	buffer_gl1_inv
	buffer_gl0_inv
	v_cmp_eq_u32_e32 vcc_lo, 0, v2
	s_and_b32 s77, vcc_lo, exec_lo
	s_or_b32 s41, s41, s77
	s_mov_b32 s78, -1
	s_or_b32 s26, s26, exec_lo
	s_and_saveexec_b32 s77, s41
	s_cbranch_execz .LBB6_88
.LBB6_92:                               ;   in Loop: Header=BB6_89 Depth=3
	s_sleep 1
	s_trap 2
	ds_read_b64 v[14:15], v0
	s_waitcnt lgkmcnt(0)
	buffer_gl0_inv
	s_andn2_b32 s26, s26, exec_lo
	v_cmp_ge_u64_e32 vcc_lo, v[14:15], v[70:71]
	s_orn2_b32 s78, vcc_lo, exec_lo
	s_branch .LBB6_88
.LBB6_93:                               ;   in Loop: Header=BB6_57 Depth=2
	s_andn2_saveexec_b32 s16, s16
	s_cbranch_execz .LBB6_76
.LBB6_94:                               ;   in Loop: Header=BB6_57 Depth=2
	v_and_b32_e32 v2, 7, v96
	s_or_b32 s22, s22, exec_lo
	s_or_b32 exec_lo, exec_lo, s16
	s_and_saveexec_b32 s16, s22
	s_cbranch_execnz .LBB6_77
	s_branch .LBB6_78
.LBB6_95:                               ;   in Loop: Header=BB6_57 Depth=2
	s_inst_prefetch 0x2
	s_or_b32 exec_lo, exec_lo, s24
	s_and_saveexec_b32 s24, s25
	s_xor_b32 s24, exec_lo, s24
	s_cbranch_execz .LBB6_97
; %bb.96:                               ;   in Loop: Header=BB6_57 Depth=2
	ds_write_b32 v0, v92
	s_trap 2
.LBB6_97:                               ;   in Loop: Header=BB6_57 Depth=2
	s_or_b32 exec_lo, exec_lo, s23
	;;#ASMSTART
	s_wakeup
	;;#ASMEND
.LBB6_98:                               ;   in Loop: Header=BB6_57 Depth=2
	s_or_b32 exec_lo, exec_lo, s22
.LBB6_99:                               ;   in Loop: Header=BB6_57 Depth=2
	s_andn2_saveexec_b32 s17, s17
	s_cbranch_execz .LBB6_101
; %bb.100:                              ;   in Loop: Header=BB6_57 Depth=2
	s_waitcnt vmcnt(0) lgkmcnt(0)
	s_waitcnt_vscnt null, 0x0
	buffer_gl1_inv
	buffer_gl0_inv
	s_barrier
.LBB6_101:                              ;   in Loop: Header=BB6_57 Depth=2
	s_or_b32 exec_lo, exec_lo, s17
.LBB6_102:                              ;   in Loop: Header=BB6_57 Depth=2
	s_or_b32 exec_lo, exec_lo, s16
	s_trap 2
	ds_read_b32 v9, v0
	v_and_b32_e32 v2, 0x4000, v78
	s_xor_b32 s16, s5, -1
	v_cmp_ne_u32_e32 vcc_lo, 0, v2
	s_and_b32 s17, s16, vcc_lo
	s_and_saveexec_b32 s16, s17
	s_cbranch_execz .LBB6_121
; %bb.103:                              ;   in Loop: Header=BB6_57 Depth=2
	s_and_saveexec_b32 s17, s46
	s_xor_b32 s17, exec_lo, s17
	s_cbranch_execz .LBB6_118
; %bb.104:                              ;   in Loop: Header=BB6_57 Depth=2
	s_and_saveexec_b32 s22, s11
	s_cbranch_execz .LBB6_117
; %bb.105:                              ;   in Loop: Header=BB6_57 Depth=2
	s_mov_b32 s24, exec_lo
	s_mov_b32 s23, exec_lo
	v_mbcnt_lo_u32_b32 v2, s24, 0
	s_waitcnt vmcnt(0) lgkmcnt(0)
	s_waitcnt_vscnt null, 0x0
	buffer_gl1_inv
	buffer_gl0_inv
	v_cmpx_eq_u32_e32 0, v2
	s_cbranch_execz .LBB6_107
; %bb.106:                              ;   in Loop: Header=BB6_57 Depth=2
	s_bcnt1_i32_b32 s24, s24
	v_mov_b32_e32 v2, s24
	ds_add_u64 v0, v[2:3]
	s_trap 2
.LBB6_107:                              ;   in Loop: Header=BB6_57 Depth=2
	s_or_b32 exec_lo, exec_lo, s23
	s_trap 2
	ds_read_b64 v[14:15], v0
	s_waitcnt lgkmcnt(0)
	buffer_gl0_inv
	v_add_co_u32 v70, vcc_lo, v70, v89
	v_add_co_ci_u32_e64 v71, null, 0, v71, vcc_lo
	s_mov_b32 s23, exec_lo
	v_cmpx_lt_u64_e64 v[14:15], v[70:71]
	s_cbranch_execz .LBB6_116
; %bb.108:                              ;   in Loop: Header=BB6_57 Depth=2
	s_mov_b32 s24, 0
	s_mov_b32 s28, 0
                                        ; implicit-def: $sgpr25
                                        ; implicit-def: $sgpr26
	s_inst_prefetch 0x1
	s_branch .LBB6_110
	.p2align	6
.LBB6_109:                              ;   in Loop: Header=BB6_110 Depth=3
	s_or_b32 exec_lo, exec_lo, s77
	s_and_b32 s41, exec_lo, s78
	s_or_b32 s24, s41, s24
	s_andn2_b32 s25, s25, exec_lo
	s_and_b32 s41, s26, exec_lo
	s_or_b32 s25, s25, s41
	s_andn2_b32 exec_lo, exec_lo, s24
	s_cbranch_execz .LBB6_114
.LBB6_110:                              ;   Parent Loop BB6_47 Depth=1
                                        ;     Parent Loop BB6_57 Depth=2
                                        ; =>    This Inner Loop Header: Depth=3
	s_add_i32 s28, s28, 1
	s_cmpk_lg_i32 s28, 0x2710
	s_cselect_b32 s41, -1, 0
	s_and_b32 vcc_lo, exec_lo, s41
	s_cbranch_vccz .LBB6_112
; %bb.111:                              ;   in Loop: Header=BB6_110 Depth=3
	s_mov_b32 s78, -1
	s_or_b32 s26, s26, exec_lo
	s_and_saveexec_b32 s77, s41
	s_cbranch_execz .LBB6_109
	s_branch .LBB6_113
	.p2align	6
.LBB6_112:                              ;   in Loop: Header=BB6_110 Depth=3
	s_trap 2
	ds_read_b64 v[14:15], v0
	s_andn2_b32 s41, s41, exec_lo
	s_mov_b32 s28, 0
	s_waitcnt lgkmcnt(0)
	flat_load_dword v2, v[14:15] glc dlc
	s_waitcnt vmcnt(0) lgkmcnt(0)
	buffer_gl1_inv
	buffer_gl0_inv
	v_cmp_eq_u32_e32 vcc_lo, 0, v2
	s_and_b32 s77, vcc_lo, exec_lo
	s_or_b32 s41, s41, s77
	s_mov_b32 s78, -1
	s_or_b32 s26, s26, exec_lo
	s_and_saveexec_b32 s77, s41
	s_cbranch_execz .LBB6_109
.LBB6_113:                              ;   in Loop: Header=BB6_110 Depth=3
	s_sleep 1
	s_trap 2
	ds_read_b64 v[14:15], v0
	s_waitcnt lgkmcnt(0)
	buffer_gl0_inv
	s_andn2_b32 s26, s26, exec_lo
	v_cmp_ge_u64_e32 vcc_lo, v[14:15], v[70:71]
	s_orn2_b32 s78, vcc_lo, exec_lo
	s_branch .LBB6_109
.LBB6_114:                              ;   in Loop: Header=BB6_57 Depth=2
	s_inst_prefetch 0x2
	s_or_b32 exec_lo, exec_lo, s24
	s_and_saveexec_b32 s24, s25
	s_xor_b32 s24, exec_lo, s24
	s_cbranch_execz .LBB6_116
; %bb.115:                              ;   in Loop: Header=BB6_57 Depth=2
	ds_write_b32 v0, v92
	s_trap 2
.LBB6_116:                              ;   in Loop: Header=BB6_57 Depth=2
	s_or_b32 exec_lo, exec_lo, s23
	;;#ASMSTART
	s_wakeup
	;;#ASMEND
.LBB6_117:                              ;   in Loop: Header=BB6_57 Depth=2
	s_or_b32 exec_lo, exec_lo, s22
.LBB6_118:                              ;   in Loop: Header=BB6_57 Depth=2
	s_andn2_saveexec_b32 s17, s17
	s_cbranch_execz .LBB6_120
; %bb.119:                              ;   in Loop: Header=BB6_57 Depth=2
	s_waitcnt vmcnt(0) lgkmcnt(0)
	s_waitcnt_vscnt null, 0x0
	buffer_gl1_inv
	buffer_gl0_inv
	s_barrier
.LBB6_120:                              ;   in Loop: Header=BB6_57 Depth=2
	s_or_b32 exec_lo, exec_lo, s17
.LBB6_121:                              ;   in Loop: Header=BB6_57 Depth=2
	s_or_b32 exec_lo, exec_lo, s16
	s_trap 2
	ds_read_b64 v[14:15], v0
	s_waitcnt lgkmcnt(0)
	v_cmp_eq_u64_e32 vcc_lo, 0, v[14:15]
	s_cbranch_vccnz .LBB6_129
; %bb.122:                              ;   in Loop: Header=BB6_57 Depth=2
	s_trap 2
	ds_read_b64 v[16:17], v0
	s_waitcnt lgkmcnt(0)
	v_cmp_eq_u64_e32 vcc_lo, 0, v[16:17]
	s_cbranch_vccnz .LBB6_129
; %bb.123:                              ;   in Loop: Header=BB6_57 Depth=2
	s_mov_b32 s16, -1
	s_and_saveexec_b32 s17, s12
	s_cbranch_execz .LBB6_125
; %bb.124:                              ;   in Loop: Header=BB6_57 Depth=2
	ds_read_b32 v2, v0 offset:720
	s_waitcnt lgkmcnt(0)
	v_and_b32_e32 v2, 15, v2
	v_cmp_eq_u32_e32 vcc_lo, 0, v2
	s_orn2_b32 s16, vcc_lo, exec_lo
.LBB6_125:                              ;   in Loop: Header=BB6_57 Depth=2
	s_or_b32 exec_lo, exec_lo, s17
	s_and_saveexec_b32 s17, s13
	s_cbranch_execz .LBB6_127
; %bb.126:                              ;   in Loop: Header=BB6_57 Depth=2
	ds_read_b32 v2, v0 offset:784
	s_waitcnt lgkmcnt(0)
	v_and_b32_e32 v2, 15, v2
	v_cmp_eq_u32_e32 vcc_lo, 0, v2
	s_and_b32 s22, s16, vcc_lo
	s_andn2_b32 s16, s16, exec_lo
	s_and_b32 s22, s22, exec_lo
	s_or_b32 s16, s16, s22
.LBB6_127:                              ;   in Loop: Header=BB6_57 Depth=2
	s_or_b32 exec_lo, exec_lo, s17
	v_cmp_eq_u32_e32 vcc_lo, 0, v9
	s_xor_b32 s16, s16, -1
	v_cndmask_b32_e64 v11, 0, 1, s16
	s_mov_b32 s16, -1
	v_cndmask_b32_e32 v2, 0, v8, vcc_lo
	v_cmp_ne_u32_e32 vcc_lo, 0, v11
	v_mov_b32_e32 v11, 0
	v_lshlrev_b32_e32 v9, 3, v2
	s_cbranch_vccz .LBB6_134
; %bb.128:                              ;   in Loop: Header=BB6_57 Depth=2
	v_mov_b32_e32 v23, v0
	s_and_saveexec_b32 s17, s16
	s_cbranch_execnz .LBB6_145
	s_branch .LBB6_153
.LBB6_129:                              ;   in Loop: Header=BB6_57 Depth=2
	s_mov_b32 s16, 0
	s_and_saveexec_b32 s17, s6
	s_cbranch_execnz .LBB6_154
.LBB6_130:                              ;   in Loop: Header=BB6_57 Depth=2
	s_or_b32 exec_lo, exec_lo, s17
                                        ; implicit-def: $vgpr2
	s_and_saveexec_b32 s17, s15
	s_xor_b32 s17, exec_lo, s17
	s_cbranch_execz .LBB6_172
.LBB6_131:                              ;   in Loop: Header=BB6_57 Depth=2
	v_and_b32_e32 v2, 16, v78
	v_cmp_ne_u32_e32 vcc_lo, 0, v2
	v_and_b32_e32 v2, 16, v78
	s_and_b32 s22, vcc_lo, s16
	s_and_saveexec_b32 s16, s22
	s_cbranch_execz .LBB6_133
; %bb.132:                              ;   in Loop: Header=BB6_57 Depth=2
	v_mov_b32_e32 v2, 1
	s_waitcnt vmcnt(0) lgkmcnt(0)
	s_waitcnt_vscnt null, 0x0
	buffer_gl1_inv
	buffer_gl0_inv
.LBB6_133:                              ;   in Loop: Header=BB6_57 Depth=2
	s_or_b32 exec_lo, exec_lo, s16
	s_andn2_saveexec_b32 s16, s17
	s_cbranch_execz .LBB6_191
	s_branch .LBB6_173
.LBB6_134:                              ;   in Loop: Header=BB6_57 Depth=2
	v_ashrrev_i32_e32 v11, 31, v9
	s_mov_b32 s17, exec_lo
	v_lshrrev_b32_e32 v11, 20, v11
	v_add_nc_u32_e32 v11, v9, v11
	v_ashrrev_i32_e32 v11, 12, v11
	v_sub_nc_u32_e32 v24, v11, v91
	v_cmpx_lt_i32_e32 0, v24
	s_cbranch_execz .LBB6_138
; %bb.135:                              ;   in Loop: Header=BB6_57 Depth=2
	v_mov_b32_e32 v19, v17
	v_mov_b32_e32 v21, v15
	;; [unrolled: 1-line block ×4, first 2 shown]
	s_mov_b32 s22, 0
.LBB6_136:                              ;   Parent Loop BB6_47 Depth=1
                                        ;     Parent Loop BB6_57 Depth=2
                                        ; =>    This Inner Loop Header: Depth=3
	v_add_co_u32 v25, vcc_lo, v111, v20
	v_add_co_ci_u32_e64 v26, null, 0, v21, vcc_lo
	v_sub_nc_u32_e32 v24, v24, v89
	v_add_co_u32 v52, vcc_lo, 0x800, v25
	v_add_co_ci_u32_e64 v53, null, 0, v26, vcc_lo
	s_clause 0x3
	global_load_dwordx4 v[32:35], v[25:26], off slc
	global_load_dwordx4 v[36:39], v[25:26], off offset:512 slc
	global_load_dwordx4 v[48:51], v[25:26], off offset:1024 slc
	;; [unrolled: 1-line block ×3, first 2 shown]
	s_clause 0x3
	global_load_dwordx4 v[116:119], v[52:53], off slc
	global_load_dwordx4 v[40:43], v[52:53], off offset:512 slc
	global_load_dwordx4 v[44:47], v[52:53], off offset:1024 slc
	;; [unrolled: 1-line block ×3, first 2 shown]
	v_add_co_u32 v25, vcc_lo, v111, v18
	v_add_co_ci_u32_e64 v26, null, 0, v19, vcc_lo
	v_add_co_u32 v20, vcc_lo, v20, v95
	v_add_co_ci_u32_e64 v21, null, 0, v21, vcc_lo
	;; [unrolled: 2-line block ×3, first 2 shown]
	v_cmp_gt_i32_e32 vcc_lo, 1, v24
	v_add_co_u32 v52, s16, 0x800, v25
	v_add_co_ci_u32_e64 v53, null, 0, v26, s16
	s_or_b32 s22, vcc_lo, s22
	s_waitcnt vmcnt(7)
	global_store_dwordx4 v[25:26], v[32:35], off glc slc
	s_waitcnt vmcnt(6)
	global_store_dwordx4 v[25:26], v[36:39], off offset:512 glc slc
	s_waitcnt vmcnt(5)
	global_store_dwordx4 v[25:26], v[48:51], off offset:1024 glc slc
	;; [unrolled: 2-line block ×3, first 2 shown]
	s_waitcnt vmcnt(3)
	global_store_dwordx4 v[52:53], v[116:119], off glc slc
	s_waitcnt vmcnt(2)
	global_store_dwordx4 v[52:53], v[40:43], off offset:512 glc slc
	s_waitcnt vmcnt(1)
	global_store_dwordx4 v[52:53], v[44:47], off offset:1024 glc slc
	;; [unrolled: 2-line block ×3, first 2 shown]
	s_andn2_b32 exec_lo, exec_lo, s22
	s_cbranch_execnz .LBB6_136
; %bb.137:                              ;   in Loop: Header=BB6_57 Depth=2
	s_or_b32 exec_lo, exec_lo, s22
.LBB6_138:                              ;   in Loop: Header=BB6_57 Depth=2
	s_or_b32 exec_lo, exec_lo, s17
	v_lshlrev_b32_e32 v18, 12, v11
	v_mov_b32_e32 v11, 0
	s_mov_b32 s16, 0
	s_mov_b32 s22, exec_lo
                                        ; implicit-def: $vgpr23
	v_cmpx_ne_u32_e64 v9, v18
	s_cbranch_execz .LBB6_144
; %bb.139:                              ;   in Loop: Header=BB6_57 Depth=2
	v_lshlrev_b32_e32 v11, 5, v24
	v_sub_nc_u32_e32 v21, v9, v18
	s_mov_b32 s23, exec_lo
	v_sub_nc_u32_e32 v11, v90, v11
	v_ashrrev_i32_e32 v20, 31, v21
	v_ashrrev_i32_e32 v19, 31, v11
	v_lshrrev_b32_e32 v19, 27, v19
	v_add_nc_u32_e32 v23, v11, v19
	v_lshrrev_b32_e32 v19, 23, v20
	v_and_b32_e32 v20, 0xffffffe0, v23
	v_add_nc_u32_e32 v24, v21, v19
	v_ashrrev_i32_e32 v25, 5, v23
	v_sub_nc_u32_e32 v19, v11, v20
	v_and_b32_e32 v11, 0xfffffe00, v24
	v_ashrrev_i32_e32 v26, 9, v24
	v_lshlrev_b32_e32 v23, 4, v19
	v_sub_nc_u32_e32 v20, v21, v11
	v_lshl_add_u32 v24, v25, 9, v23
	v_cmp_lt_i32_e32 vcc_lo, 15, v20
	v_sub_nc_u32_e32 v23, v21, v24
	v_add_co_ci_u32_e64 v26, null, 0, v26, vcc_lo
	v_sub_nc_u32_e32 v21, v26, v25
	v_cmpx_lt_i32_e32 15, v23
	s_cbranch_execz .LBB6_143
; %bb.140:                              ;   in Loop: Header=BB6_57 Depth=2
	v_add_nc_u32_e32 v24, v24, v18
	s_mov_b32 s24, 0
	v_ashrrev_i32_e32 v25, 31, v24
	.p2align	6
.LBB6_141:                              ;   Parent Loop BB6_47 Depth=1
                                        ;     Parent Loop BB6_57 Depth=2
                                        ; =>    This Inner Loop Header: Depth=3
	v_add_co_u32 v26, s16, v14, v24
	v_add_co_ci_u32_e64 v27, null, v15, v25, s16
	v_sub_nc_u32_e32 v23, v23, v104
	v_sub_nc_u32_e32 v21, v21, v89
	global_load_dwordx4 v[32:35], v[26:27], off slc
	v_add_co_u32 v26, s16, v16, v24
	v_add_co_ci_u32_e64 v27, null, v17, v25, s16
	v_cmp_gt_i32_e64 s16, 16, v23
	v_add_co_u32 v24, s17, v24, v104
	v_add_co_ci_u32_e64 v25, null, 0, v25, s17
	s_or_b32 s24, s16, s24
	s_waitcnt vmcnt(0)
	global_store_dwordx4 v[26:27], v[32:35], off glc slc
	s_andn2_b32 exec_lo, exec_lo, s24
	s_cbranch_execnz .LBB6_141
; %bb.142:                              ;   in Loop: Header=BB6_57 Depth=2
	s_or_b32 exec_lo, exec_lo, s24
.LBB6_143:                              ;   in Loop: Header=BB6_57 Depth=2
	s_or_b32 exec_lo, exec_lo, s23
	v_and_b32_e32 v9, 8, v9
	v_cmp_lt_i32_e64 s16, 0, v21
	v_sub_nc_u32_e32 v23, v20, v9
	v_cndmask_b32_e64 v24, 0, v89, s16
	v_cndmask_b32_e32 v9, v20, v9, vcc_lo
	v_cndmask_b32_e32 v20, 0, v23, vcc_lo
	v_sub_nc_u32_e32 v21, v24, v21
	v_cmp_ne_u32_e32 vcc_lo, 0, v9
	v_add3_u32 v11, v11, v18, v20
	v_lshl_add_u32 v23, v21, 5, v19
	s_and_b32 s16, vcc_lo, exec_lo
.LBB6_144:                              ;   in Loop: Header=BB6_57 Depth=2
	s_or_b32 exec_lo, exec_lo, s22
	s_and_saveexec_b32 s17, s16
	s_cbranch_execz .LBB6_153
.LBB6_145:                              ;   in Loop: Header=BB6_57 Depth=2
	v_ashrrev_i32_e32 v18, 31, v23
	v_ashrrev_i32_e32 v19, 31, v9
	s_mov_b32 s22, exec_lo
	v_lshrrev_b32_e32 v18, 27, v18
	v_lshrrev_b32_e32 v19, 22, v19
	v_add_nc_u32_e32 v18, v23, v18
	v_add_nc_u32_e32 v19, v9, v19
	v_ashrrev_i32_e32 v24, 5, v18
	v_ashrrev_i32_e32 v26, 10, v19
	v_sub_nc_u32_e32 v25, v26, v24
	v_cmpx_lt_i32_e32 0, v25
	s_cbranch_execz .LBB6_149
; %bb.146:                              ;   in Loop: Header=BB6_57 Depth=2
	v_and_b32_e32 v18, 0x1fffffe0, v18
	v_lshlrev_b32_e32 v19, 10, v24
	v_mov_b32_e32 v21, v15
	v_mov_b32_e32 v20, v14
	s_mov_b32 s23, 0
	v_sub_nc_u32_e32 v18, v23, v18
	v_lshlrev_b32_e32 v18, 3, v18
	v_add3_u32 v27, v18, v11, v19
	v_mov_b32_e32 v19, v17
	v_mov_b32_e32 v18, v16
	v_ashrrev_i32_e32 v32, 31, v27
	s_inst_prefetch 0x1
	.p2align	6
.LBB6_147:                              ;   Parent Loop BB6_47 Depth=1
                                        ;     Parent Loop BB6_57 Depth=2
                                        ; =>    This Inner Loop Header: Depth=3
	v_add_co_u32 v33, vcc_lo, v27, v20
	v_add_co_ci_u32_e64 v34, null, v32, v21, vcc_lo
	v_sub_nc_u32_e32 v25, v25, v89
	v_add_co_u32 v50, vcc_lo, v27, v18
	s_clause 0x3
	flat_load_dwordx2 v[35:36], v[33:34] slc
	flat_load_dwordx2 v[37:38], v[33:34] offset:256 slc
	flat_load_dwordx2 v[48:49], v[33:34] offset:512 slc
	;; [unrolled: 1-line block ×3, first 2 shown]
	v_add_co_ci_u32_e64 v51, null, v32, v19, vcc_lo
	v_add_co_u32 v20, vcc_lo, v20, v105
	v_add_co_ci_u32_e64 v21, null, 0, v21, vcc_lo
	v_add_co_u32 v18, vcc_lo, v18, v105
	v_cmp_gt_i32_e64 s16, 1, v25
	v_add_co_ci_u32_e64 v19, null, 0, v19, vcc_lo
	s_waitcnt vmcnt(3) lgkmcnt(3)
	flat_store_dwordx2 v[50:51], v[35:36] glc slc
	s_waitcnt vmcnt(2) lgkmcnt(3)
	flat_store_dwordx2 v[50:51], v[37:38] offset:256 glc slc
	s_waitcnt vmcnt(1) lgkmcnt(3)
	flat_store_dwordx2 v[50:51], v[48:49] offset:512 glc slc
	;; [unrolled: 2-line block ×3, first 2 shown]
	s_or_b32 s23, s16, s23
	s_andn2_b32 exec_lo, exec_lo, s23
	s_cbranch_execnz .LBB6_147
; %bb.148:                              ;   in Loop: Header=BB6_57 Depth=2
	s_inst_prefetch 0x2
	s_or_b32 exec_lo, exec_lo, s23
.LBB6_149:                              ;   in Loop: Header=BB6_57 Depth=2
	s_or_b32 exec_lo, exec_lo, s22
	v_lshlrev_b32_e32 v18, 10, v26
	v_cmp_ne_u32_e32 vcc_lo, v9, v18
	s_and_b32 exec_lo, exec_lo, vcc_lo
	s_cbranch_execz .LBB6_153
; %bb.150:                              ;   in Loop: Header=BB6_57 Depth=2
	v_lshlrev_b32_e32 v19, 5, v24
	v_lshlrev_b32_e32 v20, 5, v25
	v_sub_nc_u32_e32 v19, v23, v19
	v_sub_nc_u32_e32 v19, v19, v20
	v_ashrrev_i32_e32 v20, 31, v19
	v_lshrrev_b32_e32 v20, 27, v20
	v_add_nc_u32_e32 v20, v19, v20
	v_and_b32_e32 v21, 0x1fffffe0, v20
	v_lshlrev_b32_e32 v20, 3, v20
	v_sub_nc_u32_e32 v19, v19, v21
	v_and_b32_e32 v20, 0xffffff00, v20
	v_lshlrev_b32_e32 v19, 3, v19
	v_add3_u32 v18, v20, v19, v18
	v_sub_nc_u32_e32 v9, v9, v18
	v_cmp_lt_i32_e32 vcc_lo, 7, v9
	s_and_b32 exec_lo, exec_lo, vcc_lo
	s_cbranch_execz .LBB6_153
; %bb.151:                              ;   in Loop: Header=BB6_57 Depth=2
	v_add_nc_u32_e32 v11, v18, v11
	s_mov_b32 s22, 0
	v_ashrrev_i32_e32 v18, 31, v11
	.p2align	6
.LBB6_152:                              ;   Parent Loop BB6_47 Depth=1
                                        ;     Parent Loop BB6_57 Depth=2
                                        ; =>    This Inner Loop Header: Depth=3
	v_add_co_u32 v19, vcc_lo, v14, v11
	v_add_co_ci_u32_e64 v20, null, v15, v18, vcc_lo
	v_sub_nc_u32_e32 v9, v9, v106
	v_add_co_u32 v23, vcc_lo, v16, v11
	flat_load_dwordx2 v[19:20], v[19:20] slc
	v_add_co_ci_u32_e64 v24, null, v17, v18, vcc_lo
	v_cmp_gt_i32_e32 vcc_lo, 8, v9
	v_add_co_u32 v11, s16, v11, v106
	v_add_co_ci_u32_e64 v18, null, 0, v18, s16
	s_or_b32 s22, vcc_lo, s22
	s_waitcnt vmcnt(0) lgkmcnt(0)
	flat_store_dwordx2 v[23:24], v[19:20] glc slc
	s_andn2_b32 exec_lo, exec_lo, s22
	s_cbranch_execnz .LBB6_152
.LBB6_153:                              ;   in Loop: Header=BB6_57 Depth=2
	s_or_b32 exec_lo, exec_lo, s17
	v_cmp_lt_i32_e64 s16, 0, v2
	s_and_saveexec_b32 s17, s6
	s_cbranch_execz .LBB6_130
.LBB6_154:                              ;   in Loop: Header=BB6_57 Depth=2
	s_and_saveexec_b32 s22, s46
	s_xor_b32 s22, exec_lo, s22
	s_cbranch_execz .LBB6_169
; %bb.155:                              ;   in Loop: Header=BB6_57 Depth=2
	s_and_saveexec_b32 s23, s11
	s_cbranch_execz .LBB6_168
; %bb.156:                              ;   in Loop: Header=BB6_57 Depth=2
	s_mov_b32 s25, exec_lo
	s_mov_b32 s24, exec_lo
	v_mbcnt_lo_u32_b32 v2, s25, 0
	s_waitcnt vmcnt(0) lgkmcnt(0)
	s_waitcnt_vscnt null, 0x0
	buffer_gl1_inv
	buffer_gl0_inv
	v_cmpx_eq_u32_e32 0, v2
	s_cbranch_execz .LBB6_158
; %bb.157:                              ;   in Loop: Header=BB6_57 Depth=2
	s_bcnt1_i32_b32 s25, s25
	v_mov_b32_e32 v2, s25
	ds_add_u64 v0, v[2:3]
	s_trap 2
.LBB6_158:                              ;   in Loop: Header=BB6_57 Depth=2
	s_or_b32 exec_lo, exec_lo, s24
	s_trap 2
	ds_read_b64 v[14:15], v0
	s_waitcnt lgkmcnt(0)
	buffer_gl0_inv
	v_add_co_u32 v70, vcc_lo, v70, v89
	v_add_co_ci_u32_e64 v71, null, 0, v71, vcc_lo
	s_mov_b32 s24, exec_lo
	v_cmpx_lt_u64_e64 v[14:15], v[70:71]
	s_cbranch_execz .LBB6_167
; %bb.159:                              ;   in Loop: Header=BB6_57 Depth=2
	s_mov_b32 s25, 0
	s_mov_b32 s41, 0
                                        ; implicit-def: $sgpr26
                                        ; implicit-def: $sgpr28
	s_inst_prefetch 0x1
	s_branch .LBB6_161
	.p2align	6
.LBB6_160:                              ;   in Loop: Header=BB6_161 Depth=3
	s_or_b32 exec_lo, exec_lo, s78
	s_and_b32 s77, exec_lo, s79
	s_or_b32 s25, s77, s25
	s_andn2_b32 s26, s26, exec_lo
	s_and_b32 s77, s28, exec_lo
	s_or_b32 s26, s26, s77
	s_andn2_b32 exec_lo, exec_lo, s25
	s_cbranch_execz .LBB6_165
.LBB6_161:                              ;   Parent Loop BB6_47 Depth=1
                                        ;     Parent Loop BB6_57 Depth=2
                                        ; =>    This Inner Loop Header: Depth=3
	s_add_i32 s41, s41, 1
	s_cmpk_lg_i32 s41, 0x2710
	s_cselect_b32 s77, -1, 0
	s_and_b32 vcc_lo, exec_lo, s77
	s_cbranch_vccz .LBB6_163
; %bb.162:                              ;   in Loop: Header=BB6_161 Depth=3
	s_mov_b32 s79, -1
	s_or_b32 s28, s28, exec_lo
	s_and_saveexec_b32 s78, s77
	s_cbranch_execz .LBB6_160
	s_branch .LBB6_164
	.p2align	6
.LBB6_163:                              ;   in Loop: Header=BB6_161 Depth=3
	s_trap 2
	ds_read_b64 v[14:15], v0
	s_andn2_b32 s77, s77, exec_lo
	s_mov_b32 s41, 0
	s_waitcnt lgkmcnt(0)
	flat_load_dword v2, v[14:15] glc dlc
	s_waitcnt vmcnt(0) lgkmcnt(0)
	buffer_gl1_inv
	buffer_gl0_inv
	v_cmp_eq_u32_e32 vcc_lo, 0, v2
	s_and_b32 s78, vcc_lo, exec_lo
	s_or_b32 s77, s77, s78
	s_mov_b32 s79, -1
	s_or_b32 s28, s28, exec_lo
	s_and_saveexec_b32 s78, s77
	s_cbranch_execz .LBB6_160
.LBB6_164:                              ;   in Loop: Header=BB6_161 Depth=3
	s_sleep 1
	s_trap 2
	ds_read_b64 v[14:15], v0
	s_waitcnt lgkmcnt(0)
	buffer_gl0_inv
	s_andn2_b32 s28, s28, exec_lo
	v_cmp_ge_u64_e32 vcc_lo, v[14:15], v[70:71]
	s_orn2_b32 s79, vcc_lo, exec_lo
	s_branch .LBB6_160
.LBB6_165:                              ;   in Loop: Header=BB6_57 Depth=2
	s_inst_prefetch 0x2
	s_or_b32 exec_lo, exec_lo, s25
	s_and_saveexec_b32 s25, s26
	s_xor_b32 s25, exec_lo, s25
	s_cbranch_execz .LBB6_167
; %bb.166:                              ;   in Loop: Header=BB6_57 Depth=2
	ds_write_b32 v0, v92
	s_trap 2
.LBB6_167:                              ;   in Loop: Header=BB6_57 Depth=2
	s_or_b32 exec_lo, exec_lo, s24
	;;#ASMSTART
	s_wakeup
	;;#ASMEND
.LBB6_168:                              ;   in Loop: Header=BB6_57 Depth=2
	s_or_b32 exec_lo, exec_lo, s23
.LBB6_169:                              ;   in Loop: Header=BB6_57 Depth=2
	s_andn2_saveexec_b32 s22, s22
	s_cbranch_execz .LBB6_171
; %bb.170:                              ;   in Loop: Header=BB6_57 Depth=2
	s_waitcnt vmcnt(0) lgkmcnt(0)
	s_waitcnt_vscnt null, 0x0
	buffer_gl1_inv
	buffer_gl0_inv
	s_barrier
.LBB6_171:                              ;   in Loop: Header=BB6_57 Depth=2
	s_or_b32 exec_lo, exec_lo, s22
	s_or_b32 exec_lo, exec_lo, s17
                                        ; implicit-def: $vgpr2
	s_and_saveexec_b32 s17, s15
	s_xor_b32 s17, exec_lo, s17
	s_cbranch_execnz .LBB6_131
.LBB6_172:                              ;   in Loop: Header=BB6_57 Depth=2
	s_andn2_saveexec_b32 s16, s17
	s_cbranch_execz .LBB6_191
.LBB6_173:                              ;   in Loop: Header=BB6_57 Depth=2
	s_and_saveexec_b32 s17, s46
	s_xor_b32 s17, exec_lo, s17
	s_cbranch_execz .LBB6_188
; %bb.174:                              ;   in Loop: Header=BB6_57 Depth=2
	s_and_saveexec_b32 s22, s11
	s_cbranch_execz .LBB6_187
; %bb.175:                              ;   in Loop: Header=BB6_57 Depth=2
	s_mov_b32 s24, exec_lo
	s_mov_b32 s23, exec_lo
	v_mbcnt_lo_u32_b32 v2, s24, 0
	;;#ASMSTART
	s_waitcnt lgkmcnt(0) vmcnt(0)
	;;#ASMEND
	v_cmpx_eq_u32_e32 0, v2
	s_cbranch_execz .LBB6_177
; %bb.176:                              ;   in Loop: Header=BB6_57 Depth=2
	s_bcnt1_i32_b32 s24, s24
	v_mov_b32_e32 v2, s24
	s_waitcnt vmcnt(0) lgkmcnt(0)
	s_waitcnt_vscnt null, 0x0
	ds_add_u64 v0, v[2:3]
	s_trap 2
.LBB6_177:                              ;   in Loop: Header=BB6_57 Depth=2
	s_or_b32 exec_lo, exec_lo, s23
	s_trap 2
	ds_read_b64 v[14:15], v0
	s_waitcnt vmcnt(0) lgkmcnt(0)
	buffer_gl0_inv
	v_add_co_u32 v70, vcc_lo, v70, v89
	v_add_co_ci_u32_e64 v71, null, 0, v71, vcc_lo
	s_mov_b32 s23, exec_lo
	v_cmpx_lt_u64_e64 v[14:15], v[70:71]
	s_cbranch_execz .LBB6_186
; %bb.178:                              ;   in Loop: Header=BB6_57 Depth=2
	s_mov_b32 s24, 0
	s_mov_b32 s28, 0
                                        ; implicit-def: $sgpr25
                                        ; implicit-def: $sgpr26
	s_inst_prefetch 0x1
	s_branch .LBB6_180
	.p2align	6
.LBB6_179:                              ;   in Loop: Header=BB6_180 Depth=3
	s_or_b32 exec_lo, exec_lo, s77
	s_and_b32 s41, exec_lo, s78
	s_or_b32 s24, s41, s24
	s_andn2_b32 s25, s25, exec_lo
	s_and_b32 s41, s26, exec_lo
	s_or_b32 s25, s25, s41
	s_andn2_b32 exec_lo, exec_lo, s24
	s_cbranch_execz .LBB6_184
.LBB6_180:                              ;   Parent Loop BB6_47 Depth=1
                                        ;     Parent Loop BB6_57 Depth=2
                                        ; =>    This Inner Loop Header: Depth=3
	s_add_i32 s28, s28, 1
	s_cmpk_lg_i32 s28, 0x2710
	s_cselect_b32 s41, -1, 0
	s_and_b32 vcc_lo, exec_lo, s41
	s_cbranch_vccz .LBB6_182
; %bb.181:                              ;   in Loop: Header=BB6_180 Depth=3
	s_mov_b32 s78, -1
	s_or_b32 s26, s26, exec_lo
	s_and_saveexec_b32 s77, s41
	s_cbranch_execz .LBB6_179
	s_branch .LBB6_183
	.p2align	6
.LBB6_182:                              ;   in Loop: Header=BB6_180 Depth=3
	s_trap 2
	ds_read_b64 v[14:15], v0
	s_andn2_b32 s41, s41, exec_lo
	s_mov_b32 s28, 0
	s_waitcnt lgkmcnt(0)
	s_waitcnt_vscnt null, 0x0
	flat_load_dword v2, v[14:15] glc dlc
	s_waitcnt vmcnt(0) lgkmcnt(0)
	buffer_gl1_inv
	buffer_gl0_inv
	v_cmp_eq_u32_e32 vcc_lo, 0, v2
	s_and_b32 s77, vcc_lo, exec_lo
	s_or_b32 s41, s41, s77
	s_mov_b32 s78, -1
	s_or_b32 s26, s26, exec_lo
	s_and_saveexec_b32 s77, s41
	s_cbranch_execz .LBB6_179
.LBB6_183:                              ;   in Loop: Header=BB6_180 Depth=3
	s_sleep 1
	s_trap 2
	ds_read_b64 v[14:15], v0
	s_waitcnt lgkmcnt(0)
	buffer_gl0_inv
	s_andn2_b32 s26, s26, exec_lo
	v_cmp_ge_u64_e32 vcc_lo, v[14:15], v[70:71]
	s_orn2_b32 s78, vcc_lo, exec_lo
	s_branch .LBB6_179
.LBB6_184:                              ;   in Loop: Header=BB6_57 Depth=2
	s_inst_prefetch 0x2
	s_or_b32 exec_lo, exec_lo, s24
	s_and_saveexec_b32 s24, s25
	s_xor_b32 s24, exec_lo, s24
	s_cbranch_execz .LBB6_186
; %bb.185:                              ;   in Loop: Header=BB6_57 Depth=2
	ds_write_b32 v0, v92
	s_trap 2
.LBB6_186:                              ;   in Loop: Header=BB6_57 Depth=2
	s_or_b32 exec_lo, exec_lo, s23
	;;#ASMSTART
	s_wakeup
	;;#ASMEND
.LBB6_187:                              ;   in Loop: Header=BB6_57 Depth=2
	s_or_b32 exec_lo, exec_lo, s22
.LBB6_188:                              ;   in Loop: Header=BB6_57 Depth=2
	s_andn2_saveexec_b32 s17, s17
	s_cbranch_execz .LBB6_190
; %bb.189:                              ;   in Loop: Header=BB6_57 Depth=2
	;;#ASMSTART
	s_waitcnt lgkmcnt(0) vmcnt(0)
	;;#ASMEND
	s_barrier
.LBB6_190:                              ;   in Loop: Header=BB6_57 Depth=2
	s_or_b32 exec_lo, exec_lo, s17
	v_and_b32_e32 v2, 16, v78
.LBB6_191:                              ;   in Loop: Header=BB6_57 Depth=2
	s_or_b32 exec_lo, exec_lo, s16
	s_mov_b32 s16, exec_lo
	v_cmpx_ne_u32_e32 0, v2
	s_cbranch_execz .LBB6_56
; %bb.192:                              ;   in Loop: Header=BB6_57 Depth=2
	s_and_saveexec_b32 s17, s10
	s_cbranch_execz .LBB6_55
; %bb.193:                              ;   in Loop: Header=BB6_57 Depth=2
	s_waitcnt vmcnt(0) lgkmcnt(0)
	s_waitcnt_vscnt null, 0x0
	flat_store_dword v[68:69], v92
	s_branch .LBB6_55
.LBB6_194:                              ;   in Loop: Header=BB6_47 Depth=1
	s_or_b32 exec_lo, exec_lo, s19
.LBB6_195:                              ;   in Loop: Header=BB6_47 Depth=1
	s_or_b32 exec_lo, exec_lo, s18
	s_mov_b32 s17, exec_lo
	v_cmpx_gt_i32_e32 2, v2
	s_cbranch_execz .LBB6_269
; %bb.196:                              ;   in Loop: Header=BB6_47 Depth=1
	v_cmp_eq_u32_e64 s19, 0, v2
	s_mov_b32 s18, 0
	s_branch .LBB6_199
.LBB6_197:                              ;   in Loop: Header=BB6_199 Depth=2
	s_or_b32 exec_lo, exec_lo, s19
	v_add_co_u32 v96, vcc_lo, v96, 2
	v_add_co_ci_u32_e64 v97, null, 0, v97, vcc_lo
	s_waitcnt vmcnt(0) lgkmcnt(0)
	s_waitcnt_vscnt null, 0x0
	flat_store_dwordx2 v[64:65], v[96:97]
.LBB6_198:                              ;   in Loop: Header=BB6_199 Depth=2
	s_or_b32 exec_lo, exec_lo, s16
	v_add_nc_u32_e32 v10, v8, v10
	s_mov_b32 s19, 0
	s_andn2_b32 exec_lo, exec_lo, s18
	s_cbranch_execz .LBB6_268
.LBB6_199:                              ;   Parent Loop BB6_47 Depth=1
                                        ; =>  This Loop Header: Depth=2
                                        ;       Child Loop BB6_205 Depth 3
                                        ;       Child Loop BB6_229 Depth 3
	;; [unrolled: 1-line block ×3, first 2 shown]
	v_sub_nc_u32_e32 v2, v22, v10
	v_and_b32_e32 v9, 8, v78
	s_mov_b32 s20, exec_lo
	v_min_i32_e32 v8, v8, v2
	v_cmpx_ne_u32_e32 0, v9
	s_cbranch_execz .LBB6_221
; %bb.200:                              ;   in Loop: Header=BB6_199 Depth=2
	s_waitcnt vmcnt(0) lgkmcnt(1)
	v_add_co_u32 v13, vcc_lo, v80, 8
	v_add_co_ci_u32_e64 v14, null, 0, v81, vcc_lo
	v_add_co_u32 v11, vcc_lo, v96, 2
	v_add_co_ci_u32_e64 v12, null, 0, v97, vcc_lo
	s_mov_b32 s21, exec_lo
	v_cmpx_lt_u64_e64 v[13:14], v[11:12]
	s_cbranch_execz .LBB6_212
; %bb.201:                              ;   in Loop: Header=BB6_199 Depth=2
	v_and_b32_e32 v2, 64, v78
	s_mov_b32 s22, 0
	s_mov_b32 s26, 0
                                        ; implicit-def: $sgpr23
                                        ; implicit-def: $sgpr24
                                        ; implicit-def: $sgpr25
	v_cmp_eq_u32_e32 vcc_lo, 0, v2
	s_branch .LBB6_205
.LBB6_202:                              ;   in Loop: Header=BB6_205 Depth=3
	s_waitcnt vmcnt(0) lgkmcnt(0)
	v_add_co_u32 v13, s16, v80, 8
	v_add_co_ci_u32_e64 v14, null, 0, v81, s16
	s_or_b32 s77, s77, exec_lo
	v_cmp_ge_u64_e64 s16, v[13:14], v[11:12]
	s_orn2_b32 s41, s16, exec_lo
.LBB6_203:                              ;   in Loop: Header=BB6_205 Depth=3
	s_or_b32 exec_lo, exec_lo, s79
	s_andn2_b32 s16, s25, exec_lo
	s_and_b32 s25, s77, exec_lo
	s_andn2_b32 s24, s24, exec_lo
	s_and_b32 s41, s41, exec_lo
	s_or_b32 s25, s16, s25
	s_or_b32 s24, s24, s41
.LBB6_204:                              ;   in Loop: Header=BB6_205 Depth=3
	s_or_b32 exec_lo, exec_lo, s28
	s_and_b32 s16, exec_lo, s24
	s_or_b32 s22, s16, s22
	s_andn2_b32 s16, s23, exec_lo
	s_and_b32 s23, s25, exec_lo
	s_or_b32 s23, s16, s23
	s_andn2_b32 exec_lo, exec_lo, s22
	s_cbranch_execz .LBB6_209
.LBB6_205:                              ;   Parent Loop BB6_47 Depth=1
                                        ;     Parent Loop BB6_199 Depth=2
                                        ; =>    This Inner Loop Header: Depth=3
	s_sleep 1
	s_waitcnt vmcnt(0) lgkmcnt(0)
	flat_load_dwordx2 v[80:81], v[64:65] glc dlc
	s_or_b32 s25, s25, exec_lo
	s_or_b32 s24, s24, exec_lo
                                        ; implicit-def: $vgpr2
	s_and_saveexec_b32 s28, vcc_lo
	s_cbranch_execz .LBB6_204
; %bb.206:                              ;   in Loop: Header=BB6_205 Depth=3
	s_cmpk_lt_i32 s26, 0x270f
	s_mov_b32 s41, -1
	s_cselect_b32 s78, -1, 0
	s_cmpk_gt_i32 s26, 0x270e
	s_cbranch_scc0 .LBB6_208
; %bb.207:                              ;   in Loop: Header=BB6_205 Depth=3
	s_trap 2
	ds_read_b64 v[13:14], v0
	s_andn2_b32 s26, s78, exec_lo
	s_mov_b32 s77, 0
	s_waitcnt vmcnt(0) lgkmcnt(0)
	s_waitcnt_vscnt null, 0x0
	flat_load_dword v2, v[13:14] glc dlc
	s_waitcnt vmcnt(0) lgkmcnt(0)
	buffer_gl1_inv
	buffer_gl0_inv
	v_cmp_eq_u32_e64 s16, 0, v2
	s_and_b32 s16, s16, exec_lo
	s_or_b32 s78, s26, s16
	s_mov_b32 s26, 0
	s_and_saveexec_b32 s79, s78
	s_cbranch_execz .LBB6_203
	s_branch .LBB6_202
.LBB6_208:                              ;   in Loop: Header=BB6_205 Depth=3
	s_add_i32 s26, s26, 1
	s_mov_b32 s77, -1
                                        ; implicit-def: $vgpr2
	s_and_saveexec_b32 s79, s78
	s_cbranch_execz .LBB6_203
	s_branch .LBB6_202
.LBB6_209:                              ;   in Loop: Header=BB6_199 Depth=2
	s_or_b32 exec_lo, exec_lo, s22
	s_xor_b32 s16, s23, -1
	s_and_saveexec_b32 s22, s16
	s_xor_b32 s16, exec_lo, s22
	s_cbranch_execz .LBB6_211
; %bb.210:                              ;   in Loop: Header=BB6_199 Depth=2
	v_or_b32_e32 v78, 64, v78
	s_waitcnt vmcnt(0) lgkmcnt(0)
	s_waitcnt_vscnt null, 0x0
	ds_write_b32 v0, v2
	s_trap 2
.LBB6_211:                              ;   in Loop: Header=BB6_199 Depth=2
	s_or_b32 exec_lo, exec_lo, s16
.LBB6_212:                              ;   in Loop: Header=BB6_199 Depth=2
	s_or_b32 exec_lo, exec_lo, s21
	v_and_b32_e32 v2, 0x100, v78
	s_mov_b32 s21, 0
	s_mov_b32 s16, exec_lo
	;;#ASMSTART
	s_wakeup
	;;#ASMEND
                                        ; implicit-def: $vgpr13_vgpr14
	v_cmpx_ne_u32_e32 0, v2
	s_xor_b32 s16, exec_lo, s16
                                        ; implicit-def: $vgpr2
	s_cbranch_execz .LBB6_233
; %bb.213:                              ;   in Loop: Header=BB6_199 Depth=2
	v_and_b32_e32 v2, 7, v96
	v_ashrrev_i32_e32 v9, 31, v8
	s_mov_b32 s21, -1
	s_mov_b32 s22, exec_lo
	v_mad_u64_u32 v[15:16], null, v2, 24, v[6:7]
	v_lshlrev_b64 v[13:14], 3, v[8:9]
	flat_load_dword v17, v[15:16]
	flat_store_dwordx2 v[15:16], v[13:14] offset:8
                                        ; implicit-def: $vgpr13_vgpr14
	s_waitcnt vmcnt(0) lgkmcnt(1)
	v_cmpx_eq_u32_e32 1, v17
	s_cbranch_execz .LBB6_215
; %bb.214:                              ;   in Loop: Header=BB6_199 Depth=2
	flat_load_dword v13, v[15:16] offset:4 glc dlc
	s_xor_b32 s21, exec_lo, -1
	s_waitcnt vmcnt(0) lgkmcnt(0)
	v_ashrrev_i32_e32 v14, 31, v13
	v_lshrrev_b64 v[13:14], 3, v[13:14]
.LBB6_215:                              ;   in Loop: Header=BB6_199 Depth=2
	s_or_b32 exec_lo, exec_lo, s22
	s_and_b32 s21, s21, exec_lo
                                        ; implicit-def: $vgpr96_vgpr97
	s_andn2_saveexec_b32 s16, s16
	s_cbranch_execnz .LBB6_234
.LBB6_216:                              ;   in Loop: Header=BB6_199 Depth=2
	s_or_b32 exec_lo, exec_lo, s16
	s_and_saveexec_b32 s16, s21
.LBB6_217:                              ;   in Loop: Header=BB6_199 Depth=2
	v_mul_lo_u32 v9, v3, v79
	v_mul_lo_u32 v15, v2, v88
	v_mad_u64_u32 v[13:14], null, v2, v79, 0
	v_add3_u32 v14, v14, v15, v9
.LBB6_218:                              ;   in Loop: Header=BB6_199 Depth=2
	s_or_b32 exec_lo, exec_lo, s16
	v_lshlrev_b64 v[13:14], 3, v[13:14]
	v_and_b32_e32 v2, 0x2000, v78
	s_mov_b32 s16, exec_lo
	v_add_co_u32 v13, vcc_lo, v66, v13
	v_add_co_ci_u32_e64 v14, null, v67, v14, vcc_lo
	ds_write_b64 v0, v[13:14] offset:784
	v_cmpx_ne_u32_e32 0, v2
	s_cbranch_execz .LBB6_220
; %bb.219:                              ;   in Loop: Header=BB6_199 Depth=2
	ds_read_b64 v[13:14], v0 offset:872
	s_waitcnt lgkmcnt(0)
	v_add_co_u32 v13, vcc_lo, v13, 1
	v_add_co_ci_u32_e64 v14, null, 0, v14, vcc_lo
	ds_write_b64 v0, v[13:14] offset:872
.LBB6_220:                              ;   in Loop: Header=BB6_199 Depth=2
	s_or_b32 exec_lo, exec_lo, s16
	v_mov_b32_e32 v97, v12
	v_mov_b32_e32 v96, v11
.LBB6_221:                              ;   in Loop: Header=BB6_199 Depth=2
	s_or_b32 exec_lo, exec_lo, s20
	s_xor_b32 s16, s19, -1
	s_and_b32 s16, exec_lo, s16
	s_or_b32 s18, s16, s18
	s_and_saveexec_b32 s16, s6
	s_cbranch_execz .LBB6_242
; %bb.222:                              ;   in Loop: Header=BB6_199 Depth=2
	s_and_saveexec_b32 s19, s46
	s_xor_b32 s19, exec_lo, s19
	s_cbranch_execz .LBB6_239
; %bb.223:                              ;   in Loop: Header=BB6_199 Depth=2
	s_and_saveexec_b32 s20, s11
	s_cbranch_execz .LBB6_238
; %bb.224:                              ;   in Loop: Header=BB6_199 Depth=2
	s_mov_b32 s22, exec_lo
	s_mov_b32 s21, exec_lo
	v_mbcnt_lo_u32_b32 v2, s22, 0
	s_waitcnt vmcnt(0) lgkmcnt(0)
	s_waitcnt_vscnt null, 0x0
	buffer_gl1_inv
	buffer_gl0_inv
	v_cmpx_eq_u32_e32 0, v2
	s_cbranch_execz .LBB6_226
; %bb.225:                              ;   in Loop: Header=BB6_199 Depth=2
	s_bcnt1_i32_b32 s22, s22
	v_mov_b32_e32 v2, s22
	ds_add_u64 v0, v[2:3]
	s_trap 2
.LBB6_226:                              ;   in Loop: Header=BB6_199 Depth=2
	s_or_b32 exec_lo, exec_lo, s21
	s_trap 2
	ds_read_b64 v[11:12], v0
	s_waitcnt lgkmcnt(0)
	buffer_gl0_inv
	v_add_co_u32 v70, vcc_lo, v70, v89
	v_add_co_ci_u32_e64 v71, null, 0, v71, vcc_lo
	s_mov_b32 s21, exec_lo
	v_cmpx_lt_u64_e64 v[11:12], v[70:71]
	s_cbranch_execz .LBB6_237
; %bb.227:                              ;   in Loop: Header=BB6_199 Depth=2
	s_mov_b32 s22, 0
	s_mov_b32 s25, 0
                                        ; implicit-def: $sgpr23
                                        ; implicit-def: $sgpr24
	s_inst_prefetch 0x1
	s_branch .LBB6_229
	.p2align	6
.LBB6_228:                              ;   in Loop: Header=BB6_229 Depth=3
	s_or_b32 exec_lo, exec_lo, s28
	s_and_b32 s26, exec_lo, s41
	s_or_b32 s22, s26, s22
	s_andn2_b32 s23, s23, exec_lo
	s_and_b32 s26, s24, exec_lo
	s_or_b32 s23, s23, s26
	s_andn2_b32 exec_lo, exec_lo, s22
	s_cbranch_execz .LBB6_235
.LBB6_229:                              ;   Parent Loop BB6_47 Depth=1
                                        ;     Parent Loop BB6_199 Depth=2
                                        ; =>    This Inner Loop Header: Depth=3
	s_add_i32 s25, s25, 1
	s_cmpk_lg_i32 s25, 0x2710
	s_cselect_b32 s26, -1, 0
	s_and_b32 vcc_lo, exec_lo, s26
	s_cbranch_vccz .LBB6_231
; %bb.230:                              ;   in Loop: Header=BB6_229 Depth=3
	s_mov_b32 s41, -1
	s_or_b32 s24, s24, exec_lo
	s_and_saveexec_b32 s28, s26
	s_cbranch_execz .LBB6_228
	s_branch .LBB6_232
	.p2align	6
.LBB6_231:                              ;   in Loop: Header=BB6_229 Depth=3
	s_trap 2
	ds_read_b64 v[11:12], v0
	s_andn2_b32 s26, s26, exec_lo
	s_mov_b32 s25, 0
	s_waitcnt lgkmcnt(0)
	flat_load_dword v2, v[11:12] glc dlc
	s_waitcnt vmcnt(0) lgkmcnt(0)
	buffer_gl1_inv
	buffer_gl0_inv
	v_cmp_eq_u32_e32 vcc_lo, 0, v2
	s_and_b32 s28, vcc_lo, exec_lo
	s_or_b32 s26, s26, s28
	s_mov_b32 s41, -1
	s_or_b32 s24, s24, exec_lo
	s_and_saveexec_b32 s28, s26
	s_cbranch_execz .LBB6_228
.LBB6_232:                              ;   in Loop: Header=BB6_229 Depth=3
	s_sleep 1
	s_trap 2
	ds_read_b64 v[11:12], v0
	s_waitcnt lgkmcnt(0)
	buffer_gl0_inv
	s_andn2_b32 s24, s24, exec_lo
	v_cmp_ge_u64_e32 vcc_lo, v[11:12], v[70:71]
	s_orn2_b32 s41, vcc_lo, exec_lo
	s_branch .LBB6_228
.LBB6_233:                              ;   in Loop: Header=BB6_199 Depth=2
	s_andn2_saveexec_b32 s16, s16
	s_cbranch_execz .LBB6_216
.LBB6_234:                              ;   in Loop: Header=BB6_199 Depth=2
	v_and_b32_e32 v2, 7, v96
	s_or_b32 s21, s21, exec_lo
	s_or_b32 exec_lo, exec_lo, s16
	s_and_saveexec_b32 s16, s21
	s_cbranch_execnz .LBB6_217
	s_branch .LBB6_218
.LBB6_235:                              ;   in Loop: Header=BB6_199 Depth=2
	s_inst_prefetch 0x2
	s_or_b32 exec_lo, exec_lo, s22
	s_and_saveexec_b32 s22, s23
	s_xor_b32 s22, exec_lo, s22
	s_cbranch_execz .LBB6_237
; %bb.236:                              ;   in Loop: Header=BB6_199 Depth=2
	ds_write_b32 v0, v92
	s_trap 2
.LBB6_237:                              ;   in Loop: Header=BB6_199 Depth=2
	s_or_b32 exec_lo, exec_lo, s21
	;;#ASMSTART
	s_wakeup
	;;#ASMEND
.LBB6_238:                              ;   in Loop: Header=BB6_199 Depth=2
	s_or_b32 exec_lo, exec_lo, s20
.LBB6_239:                              ;   in Loop: Header=BB6_199 Depth=2
	s_andn2_saveexec_b32 s19, s19
	s_cbranch_execz .LBB6_241
; %bb.240:                              ;   in Loop: Header=BB6_199 Depth=2
	s_waitcnt vmcnt(0) lgkmcnt(0)
	s_waitcnt_vscnt null, 0x0
	buffer_gl1_inv
	buffer_gl0_inv
	s_barrier
.LBB6_241:                              ;   in Loop: Header=BB6_199 Depth=2
	s_or_b32 exec_lo, exec_lo, s19
.LBB6_242:                              ;   in Loop: Header=BB6_199 Depth=2
	s_or_b32 exec_lo, exec_lo, s16
                                        ; implicit-def: $vgpr2
	s_and_saveexec_b32 s16, s15
	s_xor_b32 s19, exec_lo, s16
	s_cbranch_execz .LBB6_246
; %bb.243:                              ;   in Loop: Header=BB6_199 Depth=2
	s_trap 2
	ds_read_b32 v2, v0
	v_cmp_lt_i32_e32 vcc_lo, 0, v8
	s_waitcnt lgkmcnt(0)
	v_readfirstlane_b32 s16, v2
	v_and_b32_e32 v2, 16, v78
	s_cmp_eq_u32 s16, 0
	v_cmp_ne_u32_e64 s16, 0, v2
	s_cselect_b32 s20, -1, 0
	v_and_b32_e32 v2, 16, v78
	s_and_b32 s20, vcc_lo, s20
	s_and_b32 s20, s16, s20
	s_and_saveexec_b32 s16, s20
	s_cbranch_execz .LBB6_245
; %bb.244:                              ;   in Loop: Header=BB6_199 Depth=2
	v_mov_b32_e32 v2, 1
	s_waitcnt vmcnt(0)
	s_waitcnt_vscnt null, 0x0
	buffer_gl1_inv
	buffer_gl0_inv
.LBB6_245:                              ;   in Loop: Header=BB6_199 Depth=2
	s_or_b32 exec_lo, exec_lo, s16
	s_andn2_saveexec_b32 s16, s19
	s_cbranch_execz .LBB6_265
	s_branch .LBB6_247
.LBB6_246:                              ;   in Loop: Header=BB6_199 Depth=2
	s_andn2_saveexec_b32 s16, s19
	s_cbranch_execz .LBB6_265
.LBB6_247:                              ;   in Loop: Header=BB6_199 Depth=2
	s_and_saveexec_b32 s19, s46
	s_xor_b32 s19, exec_lo, s19
	s_cbranch_execz .LBB6_262
; %bb.248:                              ;   in Loop: Header=BB6_199 Depth=2
	s_and_saveexec_b32 s20, s11
	s_cbranch_execz .LBB6_261
; %bb.249:                              ;   in Loop: Header=BB6_199 Depth=2
	s_mov_b32 s22, exec_lo
	s_mov_b32 s21, exec_lo
	v_mbcnt_lo_u32_b32 v2, s22, 0
	;;#ASMSTART
	s_waitcnt lgkmcnt(0) vmcnt(0)
	;;#ASMEND
	v_cmpx_eq_u32_e32 0, v2
	s_cbranch_execz .LBB6_251
; %bb.250:                              ;   in Loop: Header=BB6_199 Depth=2
	s_bcnt1_i32_b32 s22, s22
	v_mov_b32_e32 v2, s22
	s_waitcnt vmcnt(0) lgkmcnt(0)
	s_waitcnt_vscnt null, 0x0
	ds_add_u64 v0, v[2:3]
	s_trap 2
.LBB6_251:                              ;   in Loop: Header=BB6_199 Depth=2
	s_or_b32 exec_lo, exec_lo, s21
	s_trap 2
	ds_read_b64 v[11:12], v0
	s_waitcnt vmcnt(0) lgkmcnt(0)
	buffer_gl0_inv
	v_add_co_u32 v70, vcc_lo, v70, v89
	v_add_co_ci_u32_e64 v71, null, 0, v71, vcc_lo
	s_mov_b32 s21, exec_lo
	v_cmpx_lt_u64_e64 v[11:12], v[70:71]
	s_cbranch_execz .LBB6_260
; %bb.252:                              ;   in Loop: Header=BB6_199 Depth=2
	s_mov_b32 s22, 0
	s_mov_b32 s25, 0
                                        ; implicit-def: $sgpr23
                                        ; implicit-def: $sgpr24
	s_inst_prefetch 0x1
	s_branch .LBB6_254
	.p2align	6
.LBB6_253:                              ;   in Loop: Header=BB6_254 Depth=3
	s_or_b32 exec_lo, exec_lo, s28
	s_and_b32 s26, exec_lo, s41
	s_or_b32 s22, s26, s22
	s_andn2_b32 s23, s23, exec_lo
	s_and_b32 s26, s24, exec_lo
	s_or_b32 s23, s23, s26
	s_andn2_b32 exec_lo, exec_lo, s22
	s_cbranch_execz .LBB6_258
.LBB6_254:                              ;   Parent Loop BB6_47 Depth=1
                                        ;     Parent Loop BB6_199 Depth=2
                                        ; =>    This Inner Loop Header: Depth=3
	s_add_i32 s25, s25, 1
	s_cmpk_lg_i32 s25, 0x2710
	s_cselect_b32 s26, -1, 0
	s_and_b32 vcc_lo, exec_lo, s26
	s_cbranch_vccz .LBB6_256
; %bb.255:                              ;   in Loop: Header=BB6_254 Depth=3
	s_mov_b32 s41, -1
	s_or_b32 s24, s24, exec_lo
	s_and_saveexec_b32 s28, s26
	s_cbranch_execz .LBB6_253
	s_branch .LBB6_257
	.p2align	6
.LBB6_256:                              ;   in Loop: Header=BB6_254 Depth=3
	s_trap 2
	ds_read_b64 v[11:12], v0
	s_andn2_b32 s26, s26, exec_lo
	s_mov_b32 s25, 0
	s_waitcnt lgkmcnt(0)
	s_waitcnt_vscnt null, 0x0
	flat_load_dword v2, v[11:12] glc dlc
	s_waitcnt vmcnt(0) lgkmcnt(0)
	buffer_gl1_inv
	buffer_gl0_inv
	v_cmp_eq_u32_e32 vcc_lo, 0, v2
	s_and_b32 s28, vcc_lo, exec_lo
	s_or_b32 s26, s26, s28
	s_mov_b32 s41, -1
	s_or_b32 s24, s24, exec_lo
	s_and_saveexec_b32 s28, s26
	s_cbranch_execz .LBB6_253
.LBB6_257:                              ;   in Loop: Header=BB6_254 Depth=3
	s_sleep 1
	s_trap 2
	ds_read_b64 v[11:12], v0
	s_waitcnt lgkmcnt(0)
	buffer_gl0_inv
	s_andn2_b32 s24, s24, exec_lo
	v_cmp_ge_u64_e32 vcc_lo, v[11:12], v[70:71]
	s_orn2_b32 s41, vcc_lo, exec_lo
	s_branch .LBB6_253
.LBB6_258:                              ;   in Loop: Header=BB6_199 Depth=2
	s_inst_prefetch 0x2
	s_or_b32 exec_lo, exec_lo, s22
	s_and_saveexec_b32 s22, s23
	s_xor_b32 s22, exec_lo, s22
	s_cbranch_execz .LBB6_260
; %bb.259:                              ;   in Loop: Header=BB6_199 Depth=2
	ds_write_b32 v0, v92
	s_trap 2
.LBB6_260:                              ;   in Loop: Header=BB6_199 Depth=2
	s_or_b32 exec_lo, exec_lo, s21
	;;#ASMSTART
	s_wakeup
	;;#ASMEND
.LBB6_261:                              ;   in Loop: Header=BB6_199 Depth=2
	s_or_b32 exec_lo, exec_lo, s20
.LBB6_262:                              ;   in Loop: Header=BB6_199 Depth=2
	s_andn2_saveexec_b32 s19, s19
	s_cbranch_execz .LBB6_264
; %bb.263:                              ;   in Loop: Header=BB6_199 Depth=2
	;;#ASMSTART
	s_waitcnt lgkmcnt(0) vmcnt(0)
	;;#ASMEND
	s_barrier
.LBB6_264:                              ;   in Loop: Header=BB6_199 Depth=2
	s_or_b32 exec_lo, exec_lo, s19
	v_and_b32_e32 v2, 16, v78
.LBB6_265:                              ;   in Loop: Header=BB6_199 Depth=2
	s_or_b32 exec_lo, exec_lo, s16
	s_mov_b32 s16, exec_lo
	v_cmpx_ne_u32_e32 0, v2
	s_cbranch_execz .LBB6_198
; %bb.266:                              ;   in Loop: Header=BB6_199 Depth=2
	s_and_saveexec_b32 s19, s10
	s_cbranch_execz .LBB6_197
; %bb.267:                              ;   in Loop: Header=BB6_199 Depth=2
	s_waitcnt vmcnt(0) lgkmcnt(0)
	s_waitcnt_vscnt null, 0x0
	flat_store_dword v[68:69], v92
	s_branch .LBB6_197
.LBB6_268:                              ;   in Loop: Header=BB6_47 Depth=1
	s_or_b32 exec_lo, exec_lo, s18
.LBB6_269:                              ;   in Loop: Header=BB6_47 Depth=1
	s_or_b32 exec_lo, exec_lo, s17
	s_andn2_b32 vcc_lo, exec_lo, s61
	s_cbranch_vccnz .LBB6_494
; %bb.270:                              ;   in Loop: Header=BB6_47 Depth=1
	s_mov_b32 s18, 2
	s_branch .LBB6_273
.LBB6_271:                              ;   in Loop: Header=BB6_273 Depth=2
	s_or_b32 exec_lo, exec_lo, s19
.LBB6_272:                              ;   in Loop: Header=BB6_273 Depth=2
	s_or_b32 exec_lo, exec_lo, s17
	s_add_i32 s18, s18, 1
	s_cmp_eq_u32 s18, s43
	s_cbranch_scc1 .LBB6_494
.LBB6_273:                              ;   Parent Loop BB6_47 Depth=1
                                        ; =>  This Loop Header: Depth=2
                                        ;       Child Loop BB6_276 Depth 3
                                        ;         Child Loop BB6_284 Depth 4
                                        ;         Child Loop BB6_312 Depth 4
	;; [unrolled: 1-line block ×9, first 2 shown]
                                        ;       Child Loop BB6_422 Depth 3
                                        ;         Child Loop BB6_428 Depth 4
                                        ;         Child Loop BB6_456 Depth 4
	;; [unrolled: 1-line block ×3, first 2 shown]
	s_sub_i32 s16, s57, s18
	v_mov_b32_e32 v10, 0
	s_cmp_ge_i32 s16, s43
	s_mov_b32 s20, 0
	s_cselect_b32 s17, s43, 0
	s_sub_i32 s16, s16, s17
	s_ashr_i32 s17, s16, 31
	v_mul_lo_u32 v2, v87, s16
	v_mad_u64_u32 v[11:12], null, v86, s16, 0
	v_mul_lo_u32 v8, v86, s17
	v_add3_u32 v12, v12, v8, v2
	v_sub_co_u32 v8, vcc_lo, v98, v11
	v_sub_co_ci_u32_e64 v9, null, v99, v12, vcc_lo
	v_cmp_lt_i64_e32 vcc_lo, v[86:87], v[8:9]
	v_cndmask_b32_e32 v8, v8, v86, vcc_lo
	v_max_i32_e32 v24, 0, v8
	v_cmp_lt_i32_e32 vcc_lo, 0, v8
	v_add_nc_u32_e32 v2, 31, v24
	s_and_b32 s16, s72, vcc_lo
	v_lshrrev_b32_e32 v2, 1, v2
	v_and_b32_e32 v9, 0x3ffffff0, v2
	v_mov_b32_e32 v2, 0
	v_max_i32_e32 v8, s60, v9
	s_and_saveexec_b32 s19, s16
	s_cbranch_execz .LBB6_419
; %bb.274:                              ;   in Loop: Header=BB6_273 Depth=2
	v_lshlrev_b64 v[12:13], 3, v[11:12]
	v_mov_b32_e32 v10, 0
	s_mov_b32 s22, 1
	s_mov_b32 s21, -1
	s_branch .LBB6_276
.LBB6_275:                              ;   in Loop: Header=BB6_276 Depth=3
	s_or_b32 exec_lo, exec_lo, s16
	v_add_nc_u32_e32 v10, v8, v10
	s_xor_b32 s16, s21, -1
	v_mov_b32_e32 v2, s22
	s_mov_b32 s21, 0
	s_mov_b32 s22, 2
	v_cmp_ge_i32_e32 vcc_lo, v10, v24
	s_or_b32 s16, s16, vcc_lo
	s_and_b32 s16, exec_lo, s16
	s_or_b32 s20, s16, s20
	s_andn2_b32 exec_lo, exec_lo, s20
	s_cbranch_execz .LBB6_418
.LBB6_276:                              ;   Parent Loop BB6_47 Depth=1
                                        ;     Parent Loop BB6_273 Depth=2
                                        ; =>    This Loop Header: Depth=3
                                        ;         Child Loop BB6_284 Depth 4
                                        ;         Child Loop BB6_312 Depth 4
	;; [unrolled: 1-line block ×9, first 2 shown]
	s_and_saveexec_b32 s16, s4
	s_cbranch_execz .LBB6_278
; %bb.277:                              ;   in Loop: Header=BB6_276 Depth=3
	s_trap 2
	ds_read_b64 v[14:15], v0
	v_lshlrev_b64 v[16:17], 3, v[100:101]
	v_ashrrev_i32_e32 v11, 31, v10
	s_waitcnt lgkmcnt(0)
	v_add_co_u32 v2, vcc_lo, v14, v16
	v_add_co_ci_u32_e64 v9, null, v15, v17, vcc_lo
	v_lshlrev_b64 v[14:15], 3, v[10:11]
	v_add_co_u32 v2, vcc_lo, v2, v12
	v_add_co_ci_u32_e64 v9, null, v9, v13, vcc_lo
	v_add_co_u32 v14, vcc_lo, v2, v14
	v_add_co_ci_u32_e64 v15, null, v9, v15, vcc_lo
	v_mov_b32_e32 v2, v3
	ds_write_b64 v0, v[14:15]
	ds_write_b64 v0, v[2:3]
.LBB6_278:                              ;   in Loop: Header=BB6_276 Depth=3
	s_or_b32 exec_lo, exec_lo, s16
	v_sub_nc_u32_e32 v2, v24, v10
	v_and_b32_e32 v9, 12, v78
	s_mov_b32 s17, exec_lo
	v_min_i32_e32 v8, v8, v2
	v_cmpx_ne_u32_e32 0, v9
	s_cbranch_execz .LBB6_304
; %bb.279:                              ;   in Loop: Header=BB6_276 Depth=3
	v_and_b32_e32 v2, 8, v78
	s_mov_b32 s23, exec_lo
	s_waitcnt vmcnt(0) lgkmcnt(1)
	v_add_co_u32 v16, vcc_lo, v80, v2
	v_add_co_ci_u32_e64 v17, null, 0, v81, vcc_lo
	v_add_co_u32 v14, vcc_lo, v96, 2
	v_add_co_ci_u32_e64 v15, null, 0, v97, vcc_lo
	v_cmpx_lt_u64_e64 v[16:17], v[14:15]
	s_cbranch_execz .LBB6_291
; %bb.280:                              ;   in Loop: Header=BB6_276 Depth=3
	v_and_b32_e32 v9, 64, v78
	s_mov_b32 s24, 0
	s_mov_b32 s41, 0
                                        ; implicit-def: $sgpr25
                                        ; implicit-def: $sgpr26
                                        ; implicit-def: $sgpr28
	v_cmp_eq_u32_e32 vcc_lo, 0, v9
	s_branch .LBB6_284
.LBB6_281:                              ;   in Loop: Header=BB6_284 Depth=4
	s_waitcnt vmcnt(0) lgkmcnt(0)
	v_add_co_u32 v16, s16, v80, v2
	v_add_co_ci_u32_e64 v17, null, 0, v81, s16
	s_or_b32 s79, s79, exec_lo
	v_cmp_ge_u64_e64 s16, v[16:17], v[14:15]
	s_orn2_b32 s78, s16, exec_lo
.LBB6_282:                              ;   in Loop: Header=BB6_284 Depth=4
	s_or_b32 exec_lo, exec_lo, s89
	s_andn2_b32 s16, s28, exec_lo
	s_and_b32 s28, s79, exec_lo
	s_andn2_b32 s26, s26, exec_lo
	s_and_b32 s78, s78, exec_lo
	s_or_b32 s28, s16, s28
	s_or_b32 s26, s26, s78
.LBB6_283:                              ;   in Loop: Header=BB6_284 Depth=4
	s_or_b32 exec_lo, exec_lo, s77
	s_and_b32 s16, exec_lo, s26
	s_or_b32 s24, s16, s24
	s_andn2_b32 s16, s25, exec_lo
	s_and_b32 s25, s28, exec_lo
	s_or_b32 s25, s16, s25
	s_andn2_b32 exec_lo, exec_lo, s24
	s_cbranch_execz .LBB6_288
.LBB6_284:                              ;   Parent Loop BB6_47 Depth=1
                                        ;     Parent Loop BB6_273 Depth=2
                                        ;       Parent Loop BB6_276 Depth=3
                                        ; =>      This Inner Loop Header: Depth=4
	s_sleep 1
	s_waitcnt vmcnt(0) lgkmcnt(0)
	flat_load_dwordx2 v[80:81], v[64:65] glc dlc
	s_or_b32 s28, s28, exec_lo
	s_or_b32 s26, s26, exec_lo
                                        ; implicit-def: $vgpr9
	s_and_saveexec_b32 s77, vcc_lo
	s_cbranch_execz .LBB6_283
; %bb.285:                              ;   in Loop: Header=BB6_284 Depth=4
	s_cmpk_lt_i32 s41, 0x270f
	s_mov_b32 s78, -1
	s_cselect_b32 s88, -1, 0
	s_cmpk_gt_i32 s41, 0x270e
	s_cbranch_scc0 .LBB6_287
; %bb.286:                              ;   in Loop: Header=BB6_284 Depth=4
	s_trap 2
	ds_read_b64 v[16:17], v0
	s_andn2_b32 s41, s88, exec_lo
	s_mov_b32 s79, 0
	s_waitcnt vmcnt(0) lgkmcnt(0)
	s_waitcnt_vscnt null, 0x0
	flat_load_dword v9, v[16:17] glc dlc
	s_waitcnt vmcnt(0) lgkmcnt(0)
	buffer_gl1_inv
	buffer_gl0_inv
	v_cmp_eq_u32_e64 s16, 0, v9
	s_and_b32 s16, s16, exec_lo
	s_or_b32 s88, s41, s16
	s_mov_b32 s41, 0
	s_and_saveexec_b32 s89, s88
	s_cbranch_execz .LBB6_282
	s_branch .LBB6_281
.LBB6_287:                              ;   in Loop: Header=BB6_284 Depth=4
	s_add_i32 s41, s41, 1
	s_mov_b32 s79, -1
                                        ; implicit-def: $vgpr9
	s_and_saveexec_b32 s89, s88
	s_cbranch_execz .LBB6_282
	s_branch .LBB6_281
.LBB6_288:                              ;   in Loop: Header=BB6_276 Depth=3
	s_or_b32 exec_lo, exec_lo, s24
	s_xor_b32 s16, s25, -1
	s_and_saveexec_b32 s24, s16
	s_xor_b32 s16, exec_lo, s24
	s_cbranch_execz .LBB6_290
; %bb.289:                              ;   in Loop: Header=BB6_276 Depth=3
	v_or_b32_e32 v78, 64, v78
	s_waitcnt vmcnt(0) lgkmcnt(0)
	s_waitcnt_vscnt null, 0x0
	ds_write_b32 v0, v9
	s_trap 2
.LBB6_290:                              ;   in Loop: Header=BB6_276 Depth=3
	s_or_b32 exec_lo, exec_lo, s16
.LBB6_291:                              ;   in Loop: Header=BB6_276 Depth=3
	s_or_b32 exec_lo, exec_lo, s23
	v_and_b32_e32 v9, 0x108, v78
	s_mov_b32 s16, exec_lo
	;;#ASMSTART
	s_wakeup
	;;#ASMEND
	v_cmpx_ne_u32_e32 0x108, v9
	s_xor_b32 s16, exec_lo, s16
                                        ; implicit-def: $vgpr11
; %bb.292:                              ;   in Loop: Header=BB6_276 Depth=3
	v_and_b32_e32 v11, 7, v96
                                        ; implicit-def: $vgpr96_vgpr97
; %bb.293:                              ;   in Loop: Header=BB6_276 Depth=3
	s_andn2_saveexec_b32 s16, s16
	s_cbranch_execz .LBB6_295
; %bb.294:                              ;   in Loop: Header=BB6_276 Depth=3
	v_and_b32_e32 v11, 7, v96
	v_ashrrev_i32_e32 v9, 31, v8
	v_mad_u64_u32 v[16:17], null, v11, 24, v[6:7]
	v_lshlrev_b64 v[18:19], 3, v[8:9]
	flat_store_dwordx2 v[16:17], v[18:19] offset:8
.LBB6_295:                              ;   in Loop: Header=BB6_276 Depth=3
	s_or_b32 exec_lo, exec_lo, s16
	v_and_b32_e32 v9, 0x100, v78
	s_mov_b32 s16, -1
	s_mov_b32 s23, exec_lo
                                        ; implicit-def: $vgpr16_vgpr17
	v_cmpx_ne_u32_e32 0, v9
	s_cbranch_execz .LBB6_299
; %bb.296:                              ;   in Loop: Header=BB6_276 Depth=3
	v_mad_u64_u32 v[18:19], null, v11, 24, v[6:7]
	s_mov_b32 s24, exec_lo
	v_mov_b32_e32 v9, v19
	v_mad_u64_u32 v[16:17], null, v3, 24, v[9:10]
	v_mov_b32_e32 v19, v16
                                        ; implicit-def: $vgpr16_vgpr17
	flat_load_dword v9, v[18:19]
	s_waitcnt vmcnt(0) lgkmcnt(0)
	v_cmp_ne_u32_e32 vcc_lo, 1, v9
	v_cmpx_eq_u32_e32 1, v9
	s_cbranch_execz .LBB6_298
; %bb.297:                              ;   in Loop: Header=BB6_276 Depth=3
	flat_load_dword v16, v[18:19] offset:4 glc dlc
	s_waitcnt vmcnt(0) lgkmcnt(0)
	v_ashrrev_i32_e32 v17, 31, v16
	v_lshrrev_b64 v[16:17], 3, v[16:17]
.LBB6_298:                              ;   in Loop: Header=BB6_276 Depth=3
	s_or_b32 exec_lo, exec_lo, s24
	s_orn2_b32 s16, vcc_lo, exec_lo
.LBB6_299:                              ;   in Loop: Header=BB6_276 Depth=3
	s_or_b32 exec_lo, exec_lo, s23
	s_and_saveexec_b32 s23, s16
; %bb.300:                              ;   in Loop: Header=BB6_276 Depth=3
	v_mul_lo_u32 v9, v3, v79
	v_mul_lo_u32 v18, v11, v88
	v_mad_u64_u32 v[16:17], null, v11, v79, 0
	v_add3_u32 v17, v17, v18, v9
; %bb.301:                              ;   in Loop: Header=BB6_276 Depth=3
	s_or_b32 exec_lo, exec_lo, s23
	v_cmp_eq_u32_e32 vcc_lo, 0, v2
	v_lshlrev_b64 v[16:17], 3, v[16:17]
	v_and_b32_e32 v9, 0x2000, v78
	s_mov_b32 s16, exec_lo
	v_cndmask_b32_e32 v2, 0xc8, v93, vcc_lo
	v_add_co_u32 v16, vcc_lo, v66, v16
	v_add_co_ci_u32_e64 v17, null, v67, v17, vcc_lo
	v_add_nc_u32_e32 v2, v0, v2
	ds_write_b64 v2, v[16:17] offset:584
	v_cmpx_ne_u32_e32 0, v9
	s_cbranch_execz .LBB6_303
; %bb.302:                              ;   in Loop: Header=BB6_276 Depth=3
	ds_read_b64 v[16:17], v0 offset:872
	s_waitcnt lgkmcnt(0)
	v_add_co_u32 v16, vcc_lo, v16, 1
	v_add_co_ci_u32_e64 v17, null, 0, v17, vcc_lo
	ds_write_b64 v0, v[16:17] offset:872
.LBB6_303:                              ;   in Loop: Header=BB6_276 Depth=3
	s_or_b32 exec_lo, exec_lo, s16
	v_mov_b32_e32 v97, v15
	v_mov_b32_e32 v96, v14
.LBB6_304:                              ;   in Loop: Header=BB6_276 Depth=3
	s_or_b32 exec_lo, exec_lo, s17
	s_and_saveexec_b32 s16, s6
	s_cbranch_execz .LBB6_323
; %bb.305:                              ;   in Loop: Header=BB6_276 Depth=3
	s_and_saveexec_b32 s17, s46
	s_xor_b32 s17, exec_lo, s17
	s_cbranch_execz .LBB6_320
; %bb.306:                              ;   in Loop: Header=BB6_276 Depth=3
	s_and_saveexec_b32 s23, s11
	s_cbranch_execz .LBB6_319
; %bb.307:                              ;   in Loop: Header=BB6_276 Depth=3
	s_mov_b32 s25, exec_lo
	s_mov_b32 s24, exec_lo
	v_mbcnt_lo_u32_b32 v2, s25, 0
	s_waitcnt vmcnt(0) lgkmcnt(0)
	s_waitcnt_vscnt null, 0x0
	buffer_gl1_inv
	buffer_gl0_inv
	v_cmpx_eq_u32_e32 0, v2
	s_cbranch_execz .LBB6_309
; %bb.308:                              ;   in Loop: Header=BB6_276 Depth=3
	s_bcnt1_i32_b32 s25, s25
	v_mov_b32_e32 v2, s25
	ds_add_u64 v0, v[2:3]
	s_trap 2
.LBB6_309:                              ;   in Loop: Header=BB6_276 Depth=3
	s_or_b32 exec_lo, exec_lo, s24
	s_trap 2
	ds_read_b64 v[14:15], v0
	s_waitcnt lgkmcnt(0)
	buffer_gl0_inv
	v_add_co_u32 v70, vcc_lo, v70, v89
	v_add_co_ci_u32_e64 v71, null, 0, v71, vcc_lo
	s_mov_b32 s24, exec_lo
	v_cmpx_lt_u64_e64 v[14:15], v[70:71]
	s_cbranch_execz .LBB6_318
; %bb.310:                              ;   in Loop: Header=BB6_276 Depth=3
	s_mov_b32 s25, 0
	s_mov_b32 s41, 0
                                        ; implicit-def: $sgpr26
                                        ; implicit-def: $sgpr28
	s_inst_prefetch 0x1
	s_branch .LBB6_312
	.p2align	6
.LBB6_311:                              ;   in Loop: Header=BB6_312 Depth=4
	s_or_b32 exec_lo, exec_lo, s78
	s_and_b32 s77, exec_lo, s79
	s_or_b32 s25, s77, s25
	s_andn2_b32 s26, s26, exec_lo
	s_and_b32 s77, s28, exec_lo
	s_or_b32 s26, s26, s77
	s_andn2_b32 exec_lo, exec_lo, s25
	s_cbranch_execz .LBB6_316
.LBB6_312:                              ;   Parent Loop BB6_47 Depth=1
                                        ;     Parent Loop BB6_273 Depth=2
                                        ;       Parent Loop BB6_276 Depth=3
                                        ; =>      This Inner Loop Header: Depth=4
	s_add_i32 s41, s41, 1
	s_cmpk_lg_i32 s41, 0x2710
	s_cselect_b32 s77, -1, 0
	s_and_b32 vcc_lo, exec_lo, s77
	s_cbranch_vccz .LBB6_314
; %bb.313:                              ;   in Loop: Header=BB6_312 Depth=4
	s_mov_b32 s79, -1
	s_or_b32 s28, s28, exec_lo
	s_and_saveexec_b32 s78, s77
	s_cbranch_execz .LBB6_311
	s_branch .LBB6_315
	.p2align	6
.LBB6_314:                              ;   in Loop: Header=BB6_312 Depth=4
	s_trap 2
	ds_read_b64 v[14:15], v0
	s_andn2_b32 s77, s77, exec_lo
	s_mov_b32 s41, 0
	s_waitcnt lgkmcnt(0)
	flat_load_dword v2, v[14:15] glc dlc
	s_waitcnt vmcnt(0) lgkmcnt(0)
	buffer_gl1_inv
	buffer_gl0_inv
	v_cmp_eq_u32_e32 vcc_lo, 0, v2
	s_and_b32 s78, vcc_lo, exec_lo
	s_or_b32 s77, s77, s78
	s_mov_b32 s79, -1
	s_or_b32 s28, s28, exec_lo
	s_and_saveexec_b32 s78, s77
	s_cbranch_execz .LBB6_311
.LBB6_315:                              ;   in Loop: Header=BB6_312 Depth=4
	s_sleep 1
	s_trap 2
	ds_read_b64 v[14:15], v0
	s_waitcnt lgkmcnt(0)
	buffer_gl0_inv
	s_andn2_b32 s28, s28, exec_lo
	v_cmp_ge_u64_e32 vcc_lo, v[14:15], v[70:71]
	s_orn2_b32 s79, vcc_lo, exec_lo
	s_branch .LBB6_311
.LBB6_316:                              ;   in Loop: Header=BB6_276 Depth=3
	s_inst_prefetch 0x2
	s_or_b32 exec_lo, exec_lo, s25
	s_and_saveexec_b32 s25, s26
	s_xor_b32 s25, exec_lo, s25
	s_cbranch_execz .LBB6_318
; %bb.317:                              ;   in Loop: Header=BB6_276 Depth=3
	ds_write_b32 v0, v92
	s_trap 2
.LBB6_318:                              ;   in Loop: Header=BB6_276 Depth=3
	s_or_b32 exec_lo, exec_lo, s24
	;;#ASMSTART
	s_wakeup
	;;#ASMEND
.LBB6_319:                              ;   in Loop: Header=BB6_276 Depth=3
	s_or_b32 exec_lo, exec_lo, s23
.LBB6_320:                              ;   in Loop: Header=BB6_276 Depth=3
	s_andn2_saveexec_b32 s17, s17
	s_cbranch_execz .LBB6_322
; %bb.321:                              ;   in Loop: Header=BB6_276 Depth=3
	s_waitcnt vmcnt(0) lgkmcnt(0)
	s_waitcnt_vscnt null, 0x0
	buffer_gl1_inv
	buffer_gl0_inv
	s_barrier
.LBB6_322:                              ;   in Loop: Header=BB6_276 Depth=3
	s_or_b32 exec_lo, exec_lo, s17
.LBB6_323:                              ;   in Loop: Header=BB6_276 Depth=3
	s_or_b32 exec_lo, exec_lo, s16
	s_trap 2
	ds_read_b32 v9, v0
	v_and_b32_e32 v2, 0x4000, v78
	s_xor_b32 s16, s5, -1
	v_cmp_ne_u32_e32 vcc_lo, 0, v2
	s_and_b32 s17, s16, vcc_lo
	s_and_saveexec_b32 s16, s17
	s_cbranch_execz .LBB6_342
; %bb.324:                              ;   in Loop: Header=BB6_276 Depth=3
	s_and_saveexec_b32 s17, s46
	s_xor_b32 s17, exec_lo, s17
	s_cbranch_execz .LBB6_339
; %bb.325:                              ;   in Loop: Header=BB6_276 Depth=3
	s_and_saveexec_b32 s23, s11
	s_cbranch_execz .LBB6_338
; %bb.326:                              ;   in Loop: Header=BB6_276 Depth=3
	s_mov_b32 s25, exec_lo
	s_mov_b32 s24, exec_lo
	v_mbcnt_lo_u32_b32 v2, s25, 0
	s_waitcnt vmcnt(0) lgkmcnt(0)
	s_waitcnt_vscnt null, 0x0
	buffer_gl1_inv
	buffer_gl0_inv
	v_cmpx_eq_u32_e32 0, v2
	s_cbranch_execz .LBB6_328
; %bb.327:                              ;   in Loop: Header=BB6_276 Depth=3
	s_bcnt1_i32_b32 s25, s25
	v_mov_b32_e32 v2, s25
	ds_add_u64 v0, v[2:3]
	s_trap 2
.LBB6_328:                              ;   in Loop: Header=BB6_276 Depth=3
	s_or_b32 exec_lo, exec_lo, s24
	s_trap 2
	ds_read_b64 v[14:15], v0
	s_waitcnt lgkmcnt(0)
	buffer_gl0_inv
	v_add_co_u32 v70, vcc_lo, v70, v89
	v_add_co_ci_u32_e64 v71, null, 0, v71, vcc_lo
	s_mov_b32 s24, exec_lo
	v_cmpx_lt_u64_e64 v[14:15], v[70:71]
	s_cbranch_execz .LBB6_337
; %bb.329:                              ;   in Loop: Header=BB6_276 Depth=3
	s_mov_b32 s25, 0
	s_mov_b32 s41, 0
                                        ; implicit-def: $sgpr26
                                        ; implicit-def: $sgpr28
	s_inst_prefetch 0x1
	s_branch .LBB6_331
	.p2align	6
.LBB6_330:                              ;   in Loop: Header=BB6_331 Depth=4
	s_or_b32 exec_lo, exec_lo, s78
	s_and_b32 s77, exec_lo, s79
	s_or_b32 s25, s77, s25
	s_andn2_b32 s26, s26, exec_lo
	s_and_b32 s77, s28, exec_lo
	s_or_b32 s26, s26, s77
	s_andn2_b32 exec_lo, exec_lo, s25
	s_cbranch_execz .LBB6_335
.LBB6_331:                              ;   Parent Loop BB6_47 Depth=1
                                        ;     Parent Loop BB6_273 Depth=2
                                        ;       Parent Loop BB6_276 Depth=3
                                        ; =>      This Inner Loop Header: Depth=4
	s_add_i32 s41, s41, 1
	s_cmpk_lg_i32 s41, 0x2710
	s_cselect_b32 s77, -1, 0
	s_and_b32 vcc_lo, exec_lo, s77
	s_cbranch_vccz .LBB6_333
; %bb.332:                              ;   in Loop: Header=BB6_331 Depth=4
	s_mov_b32 s79, -1
	s_or_b32 s28, s28, exec_lo
	s_and_saveexec_b32 s78, s77
	s_cbranch_execz .LBB6_330
	s_branch .LBB6_334
	.p2align	6
.LBB6_333:                              ;   in Loop: Header=BB6_331 Depth=4
	s_trap 2
	ds_read_b64 v[14:15], v0
	s_andn2_b32 s77, s77, exec_lo
	s_mov_b32 s41, 0
	s_waitcnt lgkmcnt(0)
	flat_load_dword v2, v[14:15] glc dlc
	s_waitcnt vmcnt(0) lgkmcnt(0)
	buffer_gl1_inv
	buffer_gl0_inv
	v_cmp_eq_u32_e32 vcc_lo, 0, v2
	s_and_b32 s78, vcc_lo, exec_lo
	s_or_b32 s77, s77, s78
	s_mov_b32 s79, -1
	s_or_b32 s28, s28, exec_lo
	s_and_saveexec_b32 s78, s77
	s_cbranch_execz .LBB6_330
.LBB6_334:                              ;   in Loop: Header=BB6_331 Depth=4
	s_sleep 1
	s_trap 2
	ds_read_b64 v[14:15], v0
	s_waitcnt lgkmcnt(0)
	buffer_gl0_inv
	s_andn2_b32 s28, s28, exec_lo
	v_cmp_ge_u64_e32 vcc_lo, v[14:15], v[70:71]
	s_orn2_b32 s79, vcc_lo, exec_lo
	s_branch .LBB6_330
.LBB6_335:                              ;   in Loop: Header=BB6_276 Depth=3
	s_inst_prefetch 0x2
	s_or_b32 exec_lo, exec_lo, s25
	s_and_saveexec_b32 s25, s26
	s_xor_b32 s25, exec_lo, s25
	s_cbranch_execz .LBB6_337
; %bb.336:                              ;   in Loop: Header=BB6_276 Depth=3
	ds_write_b32 v0, v92
	s_trap 2
.LBB6_337:                              ;   in Loop: Header=BB6_276 Depth=3
	s_or_b32 exec_lo, exec_lo, s24
	;;#ASMSTART
	s_wakeup
	;;#ASMEND
.LBB6_338:                              ;   in Loop: Header=BB6_276 Depth=3
	s_or_b32 exec_lo, exec_lo, s23
.LBB6_339:                              ;   in Loop: Header=BB6_276 Depth=3
	s_andn2_saveexec_b32 s17, s17
	s_cbranch_execz .LBB6_341
; %bb.340:                              ;   in Loop: Header=BB6_276 Depth=3
	s_waitcnt vmcnt(0) lgkmcnt(0)
	s_waitcnt_vscnt null, 0x0
	buffer_gl1_inv
	buffer_gl0_inv
	s_barrier
.LBB6_341:                              ;   in Loop: Header=BB6_276 Depth=3
	s_or_b32 exec_lo, exec_lo, s17
.LBB6_342:                              ;   in Loop: Header=BB6_276 Depth=3
	s_or_b32 exec_lo, exec_lo, s16
	s_trap 2
	ds_read_b64 v[14:15], v0
	s_waitcnt lgkmcnt(0)
	v_cmp_eq_u64_e32 vcc_lo, 0, v[14:15]
	s_cbranch_vccnz .LBB6_350
; %bb.343:                              ;   in Loop: Header=BB6_276 Depth=3
	s_trap 2
	ds_read_b64 v[16:17], v0
	s_waitcnt lgkmcnt(0)
	v_cmp_eq_u64_e32 vcc_lo, 0, v[16:17]
	s_cbranch_vccnz .LBB6_350
; %bb.344:                              ;   in Loop: Header=BB6_276 Depth=3
	s_mov_b32 s16, -1
	s_and_saveexec_b32 s17, s14
	s_cbranch_execz .LBB6_346
; %bb.345:                              ;   in Loop: Header=BB6_276 Depth=3
	ds_read_b32 v2, v0 offset:720
	s_waitcnt lgkmcnt(0)
	v_and_b32_e32 v2, 15, v2
	v_cmp_eq_u32_e32 vcc_lo, 0, v2
	s_orn2_b32 s16, vcc_lo, exec_lo
.LBB6_346:                              ;   in Loop: Header=BB6_276 Depth=3
	s_or_b32 exec_lo, exec_lo, s17
	s_and_saveexec_b32 s17, s13
	s_cbranch_execz .LBB6_348
; %bb.347:                              ;   in Loop: Header=BB6_276 Depth=3
	ds_read_b32 v2, v0 offset:784
	s_waitcnt lgkmcnt(0)
	v_and_b32_e32 v2, 15, v2
	v_cmp_eq_u32_e32 vcc_lo, 0, v2
	s_and_b32 s23, s16, vcc_lo
	s_andn2_b32 s16, s16, exec_lo
	s_and_b32 s23, s23, exec_lo
	s_or_b32 s16, s16, s23
.LBB6_348:                              ;   in Loop: Header=BB6_276 Depth=3
	s_or_b32 exec_lo, exec_lo, s17
	v_cmp_eq_u32_e32 vcc_lo, 0, v9
	s_xor_b32 s16, s16, -1
	v_cndmask_b32_e64 v11, 0, 1, s16
	s_mov_b32 s16, -1
	v_cndmask_b32_e32 v2, 0, v8, vcc_lo
	v_cmp_ne_u32_e32 vcc_lo, 0, v11
	v_mov_b32_e32 v11, 0
	v_lshlrev_b32_e32 v9, 3, v2
	s_cbranch_vccz .LBB6_355
; %bb.349:                              ;   in Loop: Header=BB6_276 Depth=3
	v_mov_b32_e32 v18, v0
	v_mov_b32_e32 v25, v90
	s_and_saveexec_b32 s17, s16
	s_cbranch_execnz .LBB6_368
	s_branch .LBB6_376
.LBB6_350:                              ;   in Loop: Header=BB6_276 Depth=3
	s_mov_b32 s16, 0
	s_and_saveexec_b32 s17, s6
	s_cbranch_execnz .LBB6_377
.LBB6_351:                              ;   in Loop: Header=BB6_276 Depth=3
	s_or_b32 exec_lo, exec_lo, s17
                                        ; implicit-def: $vgpr2
	s_and_saveexec_b32 s17, s15
	s_xor_b32 s17, exec_lo, s17
	s_cbranch_execz .LBB6_395
.LBB6_352:                              ;   in Loop: Header=BB6_276 Depth=3
	v_and_b32_e32 v2, 16, v78
	v_cmp_ne_u32_e32 vcc_lo, 0, v2
	v_and_b32_e32 v2, 16, v78
	s_and_b32 s23, vcc_lo, s16
	s_and_saveexec_b32 s16, s23
	s_cbranch_execz .LBB6_354
; %bb.353:                              ;   in Loop: Header=BB6_276 Depth=3
	v_mov_b32_e32 v2, 1
	s_waitcnt vmcnt(0) lgkmcnt(0)
	s_waitcnt_vscnt null, 0x0
	buffer_gl1_inv
	buffer_gl0_inv
.LBB6_354:                              ;   in Loop: Header=BB6_276 Depth=3
	s_or_b32 exec_lo, exec_lo, s16
	s_andn2_saveexec_b32 s16, s17
	s_cbranch_execz .LBB6_414
	s_branch .LBB6_396
.LBB6_355:                              ;   in Loop: Header=BB6_276 Depth=3
	v_ashrrev_i32_e32 v11, 31, v9
	s_mov_b32 s17, exec_lo
	v_lshrrev_b32_e32 v11, 21, v11
	v_add_nc_u32_e32 v11, v9, v11
	v_ashrrev_i32_e32 v11, 11, v11
	v_sub_nc_u32_e32 v27, v11, v91
	v_cmpx_lt_i32_e32 0, v27
	s_cbranch_execz .LBB6_359
; %bb.356:                              ;   in Loop: Header=BB6_276 Depth=3
	s_trap 2
	ds_read_b64 v[20:21], v0
	v_add_co_u32 v18, vcc_lo, v14, v108
	v_add_co_ci_u32_e64 v19, null, 0, v15, vcc_lo
	s_mov_b32 s23, 0
	s_waitcnt lgkmcnt(0)
	v_add_co_u32 v20, vcc_lo, v20, v108
	v_add_co_ci_u32_e64 v21, null, 0, v21, vcc_lo
	v_add_co_u32 v22, vcc_lo, v16, v108
	v_add_co_ci_u32_e64 v23, null, 0, v17, vcc_lo
.LBB6_357:                              ;   Parent Loop BB6_47 Depth=1
                                        ;     Parent Loop BB6_273 Depth=2
                                        ;       Parent Loop BB6_276 Depth=3
                                        ; =>      This Inner Loop Header: Depth=4
	global_load_dwordx4 v[32:35], v[20:21], off slc
	s_clause 0x1
	global_load_dwordx4 v[36:39], v[18:19], off slc
	global_load_dwordx4 v[48:51], v[18:19], off offset:512 slc
	s_clause 0x1
	global_load_dwordx4 v[112:115], v[20:21], off offset:512 slc
	global_load_dwordx4 v[116:119], v[20:21], off offset:1024 slc
	s_clause 0x1
	global_load_dwordx4 v[40:43], v[18:19], off offset:1024 slc
	global_load_dwordx4 v[44:47], v[18:19], off offset:1536 slc
	global_load_dwordx4 v[56:59], v[20:21], off offset:1536 slc
	v_sub_nc_u32_e32 v27, v27, v89
	v_add_co_u32 v18, vcc_lo, v18, v107
	v_add_co_ci_u32_e64 v19, null, 0, v19, vcc_lo
	v_add_co_u32 v20, vcc_lo, v20, v107
	v_add_co_ci_u32_e64 v21, null, 0, v21, vcc_lo
	v_cmp_gt_i32_e32 vcc_lo, 1, v27
	s_or_b32 s23, vcc_lo, s23
	s_waitcnt vmcnt(6)
	v_add_co_u32 v32, s16, v32, v36
	v_add_co_ci_u32_e64 v33, null, v33, v37, s16
	v_add_co_u32 v34, s16, v34, v38
	v_add_co_ci_u32_e64 v35, null, v35, v39, s16
	s_waitcnt vmcnt(4)
	v_add_co_u32 v36, s16, v112, v48
	v_add_co_ci_u32_e64 v37, null, v113, v49, s16
	v_add_co_u32 v38, s16, v114, v50
	v_add_co_ci_u32_e64 v39, null, v115, v51, s16
	;; [unrolled: 5-line block ×4, first 2 shown]
	global_store_dwordx4 v[22:23], v[32:35], off glc slc
	global_store_dwordx4 v[22:23], v[36:39], off offset:512 glc slc
	global_store_dwordx4 v[22:23], v[48:51], off offset:1024 glc slc
	;; [unrolled: 1-line block ×3, first 2 shown]
	v_add_co_u32 v22, s16, v22, v107
	v_add_co_ci_u32_e64 v23, null, 0, v23, s16
	s_andn2_b32 exec_lo, exec_lo, s23
	s_cbranch_execnz .LBB6_357
; %bb.358:                              ;   in Loop: Header=BB6_276 Depth=3
	s_or_b32 exec_lo, exec_lo, s23
.LBB6_359:                              ;   in Loop: Header=BB6_276 Depth=3
	s_or_b32 exec_lo, exec_lo, s17
	v_lshlrev_b32_e32 v26, 11, v11
	v_mov_b32_e32 v11, 0
	s_mov_b32 s16, 0
	s_mov_b32 s23, exec_lo
                                        ; implicit-def: $vgpr18
                                        ; implicit-def: $vgpr25
	v_cmpx_ne_u32_e64 v9, v26
	s_cbranch_execz .LBB6_367
; %bb.360:                              ;   in Loop: Header=BB6_276 Depth=3
	v_lshlrev_b32_e32 v11, 5, v27
	v_sub_nc_u32_e32 v19, v9, v26
	s_mov_b32 s24, exec_lo
	v_sub_nc_u32_e32 v11, v90, v11
	v_ashrrev_i32_e32 v20, 31, v19
	v_ashrrev_i32_e32 v18, 31, v11
	v_lshrrev_b32_e32 v20, 23, v20
	v_lshrrev_b32_e32 v18, 27, v18
	v_add_nc_u32_e32 v20, v19, v20
	v_add_nc_u32_e32 v18, v11, v18
	v_and_b32_e32 v27, 0xfffffe00, v20
	v_ashrrev_i32_e32 v20, 9, v20
	v_and_b32_e32 v21, 0xffffffe0, v18
	v_sub_nc_u32_e32 v33, v19, v27
	v_sub_nc_u32_e32 v32, v11, v21
	v_ashrrev_i32_e32 v21, 5, v18
	v_cmp_lt_i32_e32 vcc_lo, 15, v33
	v_lshlrev_b32_e32 v11, 4, v32
	v_add_co_ci_u32_e64 v20, null, 0, v20, vcc_lo
	v_lshl_add_u32 v18, v21, 9, v11
	v_sub_nc_u32_e32 v34, v20, v21
	v_sub_nc_u32_e32 v11, v19, v18
	v_cmpx_lt_i32_e32 15, v11
	s_cbranch_execz .LBB6_364
; %bb.361:                              ;   in Loop: Header=BB6_276 Depth=3
	s_trap 2
	ds_read_b64 v[20:21], v0
	v_add_nc_u32_e32 v22, v18, v26
	s_mov_b32 s25, 0
	v_ashrrev_i32_e32 v23, 31, v22
	v_add_co_u32 v18, s16, v22, v14
	v_add_co_ci_u32_e64 v19, null, v23, v15, s16
	s_waitcnt lgkmcnt(0)
	v_add_co_u32 v20, s16, v20, v22
	v_add_co_ci_u32_e64 v21, null, v21, v23, s16
	v_add_co_u32 v22, s16, v22, v16
	v_add_co_ci_u32_e64 v23, null, v23, v17, s16
	s_inst_prefetch 0x1
	.p2align	6
.LBB6_362:                              ;   Parent Loop BB6_47 Depth=1
                                        ;     Parent Loop BB6_273 Depth=2
                                        ;       Parent Loop BB6_276 Depth=3
                                        ; =>      This Inner Loop Header: Depth=4
	global_load_dwordx4 v[35:38], v[18:19], off slc
	global_load_dwordx4 v[48:51], v[20:21], off slc
	v_sub_nc_u32_e32 v11, v11, v104
	v_add_co_u32 v18, s16, v18, v104
	v_add_co_ci_u32_e64 v19, null, 0, v19, s16
	v_add_co_u32 v20, s16, v20, v104
	v_add_co_ci_u32_e64 v21, null, 0, v21, s16
	v_cmp_gt_i32_e64 s16, 16, v11
	v_sub_nc_u32_e32 v34, v34, v89
	s_or_b32 s25, s16, s25
	s_waitcnt vmcnt(0)
	v_add_co_u32 v35, s17, v48, v35
	v_add_co_ci_u32_e64 v36, null, v49, v36, s17
	v_add_co_u32 v37, s17, v50, v37
	v_add_co_ci_u32_e64 v38, null, v51, v38, s17
	global_store_dwordx4 v[22:23], v[35:38], off glc slc
	v_add_co_u32 v22, s17, v22, v104
	v_add_co_ci_u32_e64 v23, null, 0, v23, s17
	s_andn2_b32 exec_lo, exec_lo, s25
	s_cbranch_execnz .LBB6_362
; %bb.363:                              ;   in Loop: Header=BB6_276 Depth=3
	s_inst_prefetch 0x2
	s_or_b32 exec_lo, exec_lo, s25
.LBB6_364:                              ;   in Loop: Header=BB6_276 Depth=3
	s_or_b32 exec_lo, exec_lo, s24
	v_and_b32_e32 v19, 8, v9
	v_mov_b32_e32 v11, 0
	s_mov_b32 s17, 0
	s_mov_b32 s24, exec_lo
                                        ; implicit-def: $vgpr18
                                        ; implicit-def: $vgpr25
	v_cndmask_b32_e32 v9, v33, v19, vcc_lo
	v_cmpx_ne_u32_e32 0, v9
	s_cbranch_execz .LBB6_366
; %bb.365:                              ;   in Loop: Header=BB6_276 Depth=3
	v_cmp_lt_i32_e64 s16, 0, v34
	v_sub_nc_u32_e32 v19, v33, v19
	s_mov_b32 s17, exec_lo
	v_cndmask_b32_e64 v11, 0, v89, s16
	v_cndmask_b32_e32 v19, 0, v19, vcc_lo
	v_sub_nc_u32_e32 v11, v11, v34
	v_lshl_add_u32 v18, v11, 5, v32
	v_ashrrev_i32_e32 v11, 31, v18
	v_lshrrev_b32_e32 v11, 27, v11
	v_add_nc_u32_e32 v11, v18, v11
	v_and_b32_e32 v20, 0xffffffe0, v11
	v_add3_u32 v11, v27, v26, v19
	v_sub_nc_u32_e32 v25, v18, v20
.LBB6_366:                              ;   in Loop: Header=BB6_276 Depth=3
	s_or_b32 exec_lo, exec_lo, s24
	s_and_b32 s16, s17, exec_lo
.LBB6_367:                              ;   in Loop: Header=BB6_276 Depth=3
	s_or_b32 exec_lo, exec_lo, s23
	s_and_saveexec_b32 s17, s16
	s_cbranch_execz .LBB6_376
.LBB6_368:                              ;   in Loop: Header=BB6_276 Depth=3
	v_ashrrev_i32_e32 v19, 31, v18
	v_ashrrev_i32_e32 v20, 31, v9
	s_mov_b32 s23, exec_lo
	v_lshrrev_b32_e32 v19, 27, v19
	v_lshrrev_b32_e32 v20, 22, v20
	v_add_nc_u32_e32 v18, v18, v19
	v_add_nc_u32_e32 v19, v9, v20
	v_ashrrev_i32_e32 v18, 5, v18
	v_ashrrev_i32_e32 v27, 10, v19
	v_sub_nc_u32_e32 v26, v27, v18
	v_cmpx_lt_i32_e32 0, v26
	s_cbranch_execz .LBB6_372
; %bb.369:                              ;   in Loop: Header=BB6_276 Depth=3
	s_trap 2
	ds_read_b64 v[20:21], v0
	v_lshlrev_b32_e32 v19, 3, v25
	v_lshlrev_b32_e32 v18, 10, v18
	s_mov_b32 s24, 0
	v_add3_u32 v22, v11, v19, v18
	v_ashrrev_i32_e32 v23, 31, v22
	v_add_co_u32 v18, vcc_lo, v22, v14
	v_add_co_ci_u32_e64 v19, null, v23, v15, vcc_lo
	s_waitcnt lgkmcnt(0)
	v_add_co_u32 v20, vcc_lo, v20, v22
	v_add_co_ci_u32_e64 v21, null, v21, v23, vcc_lo
	v_add_co_u32 v22, vcc_lo, v22, v16
	v_add_co_ci_u32_e64 v23, null, v23, v17, vcc_lo
.LBB6_370:                              ;   Parent Loop BB6_47 Depth=1
                                        ;     Parent Loop BB6_273 Depth=2
                                        ;       Parent Loop BB6_276 Depth=3
                                        ; =>      This Inner Loop Header: Depth=4
	flat_load_dwordx2 v[32:33], v[20:21] slc
	s_clause 0x1
	flat_load_dwordx2 v[34:35], v[18:19] slc
	flat_load_dwordx2 v[36:37], v[18:19] offset:256 slc
	s_clause 0x1
	flat_load_dwordx2 v[38:39], v[20:21] offset:256 slc
	flat_load_dwordx2 v[48:49], v[20:21] offset:512 slc
	s_clause 0x1
	flat_load_dwordx2 v[50:51], v[18:19] offset:512 slc
	flat_load_dwordx2 v[52:53], v[18:19] offset:768 slc
	;; [unrolled: 1-line block ×3, first 2 shown]
	v_sub_nc_u32_e32 v26, v26, v89
	v_add_co_u32 v18, vcc_lo, v18, v105
	v_add_co_ci_u32_e64 v19, null, 0, v19, vcc_lo
	v_add_co_u32 v20, vcc_lo, v20, v105
	v_add_co_ci_u32_e64 v21, null, 0, v21, vcc_lo
	v_cmp_gt_i32_e32 vcc_lo, 1, v26
	s_or_b32 s24, vcc_lo, s24
	s_waitcnt vmcnt(6) lgkmcnt(6)
	v_add_co_u32 v32, s16, v32, v34
	v_add_co_ci_u32_e64 v33, null, v33, v35, s16
	s_waitcnt vmcnt(4) lgkmcnt(4)
	v_add_co_u32 v34, s16, v38, v36
	v_add_co_ci_u32_e64 v35, null, v39, v37, s16
	s_waitcnt vmcnt(2) lgkmcnt(2)
	v_add_co_u32 v36, s16, v48, v50
	v_add_co_ci_u32_e64 v37, null, v49, v51, s16
	s_waitcnt vmcnt(0) lgkmcnt(0)
	v_add_co_u32 v38, s16, v102, v52
	v_add_co_ci_u32_e64 v39, null, v103, v53, s16
	flat_store_dwordx2 v[22:23], v[32:33] glc slc
	flat_store_dwordx2 v[22:23], v[34:35] offset:256 glc slc
	flat_store_dwordx2 v[22:23], v[36:37] offset:512 glc slc
	;; [unrolled: 1-line block ×3, first 2 shown]
	v_add_co_u32 v22, s16, v22, v105
	v_add_co_ci_u32_e64 v23, null, 0, v23, s16
	s_andn2_b32 exec_lo, exec_lo, s24
	s_cbranch_execnz .LBB6_370
; %bb.371:                              ;   in Loop: Header=BB6_276 Depth=3
	s_or_b32 exec_lo, exec_lo, s24
.LBB6_372:                              ;   in Loop: Header=BB6_276 Depth=3
	s_or_b32 exec_lo, exec_lo, s23
	v_lshlrev_b32_e32 v18, 10, v27
	v_cmp_ne_u32_e32 vcc_lo, v9, v18
	s_and_b32 exec_lo, exec_lo, vcc_lo
	s_cbranch_execz .LBB6_376
; %bb.373:                              ;   in Loop: Header=BB6_276 Depth=3
	v_lshlrev_b32_e32 v19, 5, v26
	v_sub_nc_u32_e32 v19, v25, v19
	v_ashrrev_i32_e32 v20, 31, v19
	v_lshrrev_b32_e32 v20, 27, v20
	v_add_nc_u32_e32 v20, v19, v20
	v_and_b32_e32 v21, 0x1fffffe0, v20
	v_lshlrev_b32_e32 v20, 3, v20
	v_sub_nc_u32_e32 v19, v19, v21
	v_and_b32_e32 v20, 0xffffff00, v20
	v_lshlrev_b32_e32 v19, 3, v19
	v_add3_u32 v18, v20, v19, v18
	v_sub_nc_u32_e32 v9, v9, v18
	v_cmp_lt_i32_e32 vcc_lo, 7, v9
	s_and_b32 exec_lo, exec_lo, vcc_lo
	s_cbranch_execz .LBB6_376
; %bb.374:                              ;   in Loop: Header=BB6_276 Depth=3
	s_trap 2
	ds_read_b64 v[19:20], v0
	v_add_nc_u32_e32 v11, v18, v11
	s_mov_b32 s23, 0
	v_ashrrev_i32_e32 v21, 31, v11
	v_add_co_u32 v14, vcc_lo, v11, v14
	v_add_co_ci_u32_e64 v15, null, v21, v15, vcc_lo
	s_waitcnt lgkmcnt(0)
	v_add_co_u32 v18, vcc_lo, v19, v11
	v_add_co_ci_u32_e64 v19, null, v20, v21, vcc_lo
	v_add_co_u32 v16, vcc_lo, v11, v16
	v_add_co_ci_u32_e64 v17, null, v21, v17, vcc_lo
	.p2align	6
.LBB6_375:                              ;   Parent Loop BB6_47 Depth=1
                                        ;     Parent Loop BB6_273 Depth=2
                                        ;       Parent Loop BB6_276 Depth=3
                                        ; =>      This Inner Loop Header: Depth=4
	flat_load_dwordx2 v[20:21], v[14:15] slc
	flat_load_dwordx2 v[22:23], v[18:19] slc
	v_sub_nc_u32_e32 v9, v9, v106
	v_add_co_u32 v14, vcc_lo, v14, v106
	v_add_co_ci_u32_e64 v15, null, 0, v15, vcc_lo
	v_add_co_u32 v18, vcc_lo, v18, v106
	v_add_co_ci_u32_e64 v19, null, 0, v19, vcc_lo
	v_cmp_gt_i32_e32 vcc_lo, 8, v9
	s_or_b32 s23, vcc_lo, s23
	s_waitcnt vmcnt(0) lgkmcnt(0)
	v_add_co_u32 v20, s16, v22, v20
	v_add_co_ci_u32_e64 v21, null, v23, v21, s16
	flat_store_dwordx2 v[16:17], v[20:21] glc slc
	v_add_co_u32 v16, s16, v16, v106
	v_add_co_ci_u32_e64 v17, null, 0, v17, s16
	s_andn2_b32 exec_lo, exec_lo, s23
	s_cbranch_execnz .LBB6_375
.LBB6_376:                              ;   in Loop: Header=BB6_276 Depth=3
	s_or_b32 exec_lo, exec_lo, s17
	v_cmp_lt_i32_e64 s16, 0, v2
	s_and_saveexec_b32 s17, s6
	s_cbranch_execz .LBB6_351
.LBB6_377:                              ;   in Loop: Header=BB6_276 Depth=3
	s_and_saveexec_b32 s23, s46
	s_xor_b32 s23, exec_lo, s23
	s_cbranch_execz .LBB6_392
; %bb.378:                              ;   in Loop: Header=BB6_276 Depth=3
	s_and_saveexec_b32 s24, s11
	s_cbranch_execz .LBB6_391
; %bb.379:                              ;   in Loop: Header=BB6_276 Depth=3
	s_mov_b32 s26, exec_lo
	s_mov_b32 s25, exec_lo
	v_mbcnt_lo_u32_b32 v2, s26, 0
	s_waitcnt vmcnt(0) lgkmcnt(0)
	s_waitcnt_vscnt null, 0x0
	buffer_gl1_inv
	buffer_gl0_inv
	v_cmpx_eq_u32_e32 0, v2
	s_cbranch_execz .LBB6_381
; %bb.380:                              ;   in Loop: Header=BB6_276 Depth=3
	s_bcnt1_i32_b32 s26, s26
	v_mov_b32_e32 v2, s26
	ds_add_u64 v0, v[2:3]
	s_trap 2
.LBB6_381:                              ;   in Loop: Header=BB6_276 Depth=3
	s_or_b32 exec_lo, exec_lo, s25
	s_trap 2
	ds_read_b64 v[14:15], v0
	s_waitcnt lgkmcnt(0)
	buffer_gl0_inv
	v_add_co_u32 v70, vcc_lo, v70, v89
	v_add_co_ci_u32_e64 v71, null, 0, v71, vcc_lo
	s_mov_b32 s25, exec_lo
	v_cmpx_lt_u64_e64 v[14:15], v[70:71]
	s_cbranch_execz .LBB6_390
; %bb.382:                              ;   in Loop: Header=BB6_276 Depth=3
	s_mov_b32 s26, 0
	s_mov_b32 s77, 0
                                        ; implicit-def: $sgpr28
                                        ; implicit-def: $sgpr41
	s_inst_prefetch 0x1
	s_branch .LBB6_384
	.p2align	6
.LBB6_383:                              ;   in Loop: Header=BB6_384 Depth=4
	s_or_b32 exec_lo, exec_lo, s79
	s_and_b32 s78, exec_lo, s88
	s_or_b32 s26, s78, s26
	s_andn2_b32 s28, s28, exec_lo
	s_and_b32 s78, s41, exec_lo
	s_or_b32 s28, s28, s78
	s_andn2_b32 exec_lo, exec_lo, s26
	s_cbranch_execz .LBB6_388
.LBB6_384:                              ;   Parent Loop BB6_47 Depth=1
                                        ;     Parent Loop BB6_273 Depth=2
                                        ;       Parent Loop BB6_276 Depth=3
                                        ; =>      This Inner Loop Header: Depth=4
	s_add_i32 s77, s77, 1
	s_cmpk_lg_i32 s77, 0x2710
	s_cselect_b32 s78, -1, 0
	s_and_b32 vcc_lo, exec_lo, s78
	s_cbranch_vccz .LBB6_386
; %bb.385:                              ;   in Loop: Header=BB6_384 Depth=4
	s_mov_b32 s88, -1
	s_or_b32 s41, s41, exec_lo
	s_and_saveexec_b32 s79, s78
	s_cbranch_execz .LBB6_383
	s_branch .LBB6_387
	.p2align	6
.LBB6_386:                              ;   in Loop: Header=BB6_384 Depth=4
	s_trap 2
	ds_read_b64 v[14:15], v0
	s_andn2_b32 s78, s78, exec_lo
	s_mov_b32 s77, 0
	s_waitcnt lgkmcnt(0)
	flat_load_dword v2, v[14:15] glc dlc
	s_waitcnt vmcnt(0) lgkmcnt(0)
	buffer_gl1_inv
	buffer_gl0_inv
	v_cmp_eq_u32_e32 vcc_lo, 0, v2
	s_and_b32 s79, vcc_lo, exec_lo
	s_or_b32 s78, s78, s79
	s_mov_b32 s88, -1
	s_or_b32 s41, s41, exec_lo
	s_and_saveexec_b32 s79, s78
	s_cbranch_execz .LBB6_383
.LBB6_387:                              ;   in Loop: Header=BB6_384 Depth=4
	s_sleep 1
	s_trap 2
	ds_read_b64 v[14:15], v0
	s_waitcnt lgkmcnt(0)
	buffer_gl0_inv
	s_andn2_b32 s41, s41, exec_lo
	v_cmp_ge_u64_e32 vcc_lo, v[14:15], v[70:71]
	s_orn2_b32 s88, vcc_lo, exec_lo
	s_branch .LBB6_383
.LBB6_388:                              ;   in Loop: Header=BB6_276 Depth=3
	s_inst_prefetch 0x2
	s_or_b32 exec_lo, exec_lo, s26
	s_and_saveexec_b32 s26, s28
	s_xor_b32 s26, exec_lo, s26
	s_cbranch_execz .LBB6_390
; %bb.389:                              ;   in Loop: Header=BB6_276 Depth=3
	ds_write_b32 v0, v92
	s_trap 2
.LBB6_390:                              ;   in Loop: Header=BB6_276 Depth=3
	s_or_b32 exec_lo, exec_lo, s25
	;;#ASMSTART
	s_wakeup
	;;#ASMEND
.LBB6_391:                              ;   in Loop: Header=BB6_276 Depth=3
	s_or_b32 exec_lo, exec_lo, s24
.LBB6_392:                              ;   in Loop: Header=BB6_276 Depth=3
	s_andn2_saveexec_b32 s23, s23
	s_cbranch_execz .LBB6_394
; %bb.393:                              ;   in Loop: Header=BB6_276 Depth=3
	s_waitcnt vmcnt(0) lgkmcnt(0)
	s_waitcnt_vscnt null, 0x0
	buffer_gl1_inv
	buffer_gl0_inv
	s_barrier
.LBB6_394:                              ;   in Loop: Header=BB6_276 Depth=3
	s_or_b32 exec_lo, exec_lo, s23
	s_or_b32 exec_lo, exec_lo, s17
                                        ; implicit-def: $vgpr2
	s_and_saveexec_b32 s17, s15
	s_xor_b32 s17, exec_lo, s17
	s_cbranch_execnz .LBB6_352
.LBB6_395:                              ;   in Loop: Header=BB6_276 Depth=3
	s_andn2_saveexec_b32 s16, s17
	s_cbranch_execz .LBB6_414
.LBB6_396:                              ;   in Loop: Header=BB6_276 Depth=3
	s_and_saveexec_b32 s17, s46
	s_xor_b32 s17, exec_lo, s17
	s_cbranch_execz .LBB6_411
; %bb.397:                              ;   in Loop: Header=BB6_276 Depth=3
	s_and_saveexec_b32 s23, s11
	s_cbranch_execz .LBB6_410
; %bb.398:                              ;   in Loop: Header=BB6_276 Depth=3
	s_mov_b32 s25, exec_lo
	s_mov_b32 s24, exec_lo
	v_mbcnt_lo_u32_b32 v2, s25, 0
	;;#ASMSTART
	s_waitcnt lgkmcnt(0) vmcnt(0)
	;;#ASMEND
	v_cmpx_eq_u32_e32 0, v2
	s_cbranch_execz .LBB6_400
; %bb.399:                              ;   in Loop: Header=BB6_276 Depth=3
	s_bcnt1_i32_b32 s25, s25
	v_mov_b32_e32 v2, s25
	s_waitcnt vmcnt(0) lgkmcnt(0)
	s_waitcnt_vscnt null, 0x0
	ds_add_u64 v0, v[2:3]
	s_trap 2
.LBB6_400:                              ;   in Loop: Header=BB6_276 Depth=3
	s_or_b32 exec_lo, exec_lo, s24
	s_trap 2
	ds_read_b64 v[14:15], v0
	s_waitcnt vmcnt(0) lgkmcnt(0)
	buffer_gl0_inv
	v_add_co_u32 v70, vcc_lo, v70, v89
	v_add_co_ci_u32_e64 v71, null, 0, v71, vcc_lo
	s_mov_b32 s24, exec_lo
	v_cmpx_lt_u64_e64 v[14:15], v[70:71]
	s_cbranch_execz .LBB6_409
; %bb.401:                              ;   in Loop: Header=BB6_276 Depth=3
	s_mov_b32 s25, 0
	s_mov_b32 s41, 0
                                        ; implicit-def: $sgpr26
                                        ; implicit-def: $sgpr28
	s_inst_prefetch 0x1
	s_branch .LBB6_403
	.p2align	6
.LBB6_402:                              ;   in Loop: Header=BB6_403 Depth=4
	s_or_b32 exec_lo, exec_lo, s78
	s_and_b32 s77, exec_lo, s79
	s_or_b32 s25, s77, s25
	s_andn2_b32 s26, s26, exec_lo
	s_and_b32 s77, s28, exec_lo
	s_or_b32 s26, s26, s77
	s_andn2_b32 exec_lo, exec_lo, s25
	s_cbranch_execz .LBB6_407
.LBB6_403:                              ;   Parent Loop BB6_47 Depth=1
                                        ;     Parent Loop BB6_273 Depth=2
                                        ;       Parent Loop BB6_276 Depth=3
                                        ; =>      This Inner Loop Header: Depth=4
	s_add_i32 s41, s41, 1
	s_cmpk_lg_i32 s41, 0x2710
	s_cselect_b32 s77, -1, 0
	s_and_b32 vcc_lo, exec_lo, s77
	s_cbranch_vccz .LBB6_405
; %bb.404:                              ;   in Loop: Header=BB6_403 Depth=4
	s_mov_b32 s79, -1
	s_or_b32 s28, s28, exec_lo
	s_and_saveexec_b32 s78, s77
	s_cbranch_execz .LBB6_402
	s_branch .LBB6_406
	.p2align	6
.LBB6_405:                              ;   in Loop: Header=BB6_403 Depth=4
	s_trap 2
	ds_read_b64 v[14:15], v0
	s_andn2_b32 s77, s77, exec_lo
	s_mov_b32 s41, 0
	s_waitcnt lgkmcnt(0)
	s_waitcnt_vscnt null, 0x0
	flat_load_dword v2, v[14:15] glc dlc
	s_waitcnt vmcnt(0) lgkmcnt(0)
	buffer_gl1_inv
	buffer_gl0_inv
	v_cmp_eq_u32_e32 vcc_lo, 0, v2
	s_and_b32 s78, vcc_lo, exec_lo
	s_or_b32 s77, s77, s78
	s_mov_b32 s79, -1
	s_or_b32 s28, s28, exec_lo
	s_and_saveexec_b32 s78, s77
	s_cbranch_execz .LBB6_402
.LBB6_406:                              ;   in Loop: Header=BB6_403 Depth=4
	s_sleep 1
	s_trap 2
	ds_read_b64 v[14:15], v0
	s_waitcnt lgkmcnt(0)
	buffer_gl0_inv
	s_andn2_b32 s28, s28, exec_lo
	v_cmp_ge_u64_e32 vcc_lo, v[14:15], v[70:71]
	s_orn2_b32 s79, vcc_lo, exec_lo
	s_branch .LBB6_402
.LBB6_407:                              ;   in Loop: Header=BB6_276 Depth=3
	s_inst_prefetch 0x2
	s_or_b32 exec_lo, exec_lo, s25
	s_and_saveexec_b32 s25, s26
	s_xor_b32 s25, exec_lo, s25
	s_cbranch_execz .LBB6_409
; %bb.408:                              ;   in Loop: Header=BB6_276 Depth=3
	ds_write_b32 v0, v92
	s_trap 2
.LBB6_409:                              ;   in Loop: Header=BB6_276 Depth=3
	s_or_b32 exec_lo, exec_lo, s24
	;;#ASMSTART
	s_wakeup
	;;#ASMEND
.LBB6_410:                              ;   in Loop: Header=BB6_276 Depth=3
	s_or_b32 exec_lo, exec_lo, s23
.LBB6_411:                              ;   in Loop: Header=BB6_276 Depth=3
	s_andn2_saveexec_b32 s17, s17
	s_cbranch_execz .LBB6_413
; %bb.412:                              ;   in Loop: Header=BB6_276 Depth=3
	;;#ASMSTART
	s_waitcnt lgkmcnt(0) vmcnt(0)
	;;#ASMEND
	s_barrier
.LBB6_413:                              ;   in Loop: Header=BB6_276 Depth=3
	s_or_b32 exec_lo, exec_lo, s17
	v_and_b32_e32 v2, 16, v78
.LBB6_414:                              ;   in Loop: Header=BB6_276 Depth=3
	s_or_b32 exec_lo, exec_lo, s16
	v_cmp_ne_u32_e32 vcc_lo, 0, v2
	s_xor_b32 s16, s7, -1
	s_and_b32 s17, vcc_lo, s16
	s_and_saveexec_b32 s16, s17
	s_cbranch_execz .LBB6_416
; %bb.415:                              ;   in Loop: Header=BB6_276 Depth=3
	s_waitcnt vmcnt(0) lgkmcnt(0)
	s_waitcnt_vscnt null, 0x0
	flat_store_dword v[68:69], v92
.LBB6_416:                              ;   in Loop: Header=BB6_276 Depth=3
	s_or_b32 exec_lo, exec_lo, s16
	v_and_b32_e32 v2, 48, v78
	s_mov_b32 s16, exec_lo
	v_cmpx_ne_u32_e32 0, v2
	s_cbranch_execz .LBB6_275
; %bb.417:                              ;   in Loop: Header=BB6_276 Depth=3
	v_add_co_u32 v96, vcc_lo, v96, 2
	v_add_co_ci_u32_e64 v97, null, 0, v97, vcc_lo
	s_waitcnt vmcnt(0) lgkmcnt(0)
	s_waitcnt_vscnt null, 0x0
	flat_store_dwordx2 v[64:65], v[96:97]
	s_branch .LBB6_275
.LBB6_418:                              ;   in Loop: Header=BB6_273 Depth=2
	s_or_b32 exec_lo, exec_lo, s20
.LBB6_419:                              ;   in Loop: Header=BB6_273 Depth=2
	s_or_b32 exec_lo, exec_lo, s19
	s_mov_b32 s17, exec_lo
	v_cmpx_gt_i32_e32 2, v2
	s_cbranch_execz .LBB6_272
; %bb.420:                              ;   in Loop: Header=BB6_273 Depth=2
	v_cmp_eq_u32_e64 s20, 0, v2
	s_mov_b32 s19, 0
	s_branch .LBB6_422
.LBB6_421:                              ;   in Loop: Header=BB6_422 Depth=3
	s_or_b32 exec_lo, exec_lo, s16
	v_add_nc_u32_e32 v10, v8, v10
	s_mov_b32 s20, 0
	s_andn2_b32 exec_lo, exec_lo, s19
	s_cbranch_execz .LBB6_271
.LBB6_422:                              ;   Parent Loop BB6_47 Depth=1
                                        ;     Parent Loop BB6_273 Depth=2
                                        ; =>    This Loop Header: Depth=3
                                        ;         Child Loop BB6_428 Depth 4
                                        ;         Child Loop BB6_456 Depth 4
	;; [unrolled: 1-line block ×3, first 2 shown]
	v_sub_nc_u32_e32 v2, v24, v10
	v_and_b32_e32 v9, 12, v78
	s_mov_b32 s21, exec_lo
	v_min_i32_e32 v8, v8, v2
	v_cmpx_ne_u32_e32 0, v9
	s_cbranch_execz .LBB6_448
; %bb.423:                              ;   in Loop: Header=BB6_422 Depth=3
	v_and_b32_e32 v2, 8, v78
	s_mov_b32 s22, exec_lo
	s_waitcnt vmcnt(0) lgkmcnt(1)
	v_add_co_u32 v13, vcc_lo, v80, v2
	v_add_co_ci_u32_e64 v14, null, 0, v81, vcc_lo
	v_add_co_u32 v11, vcc_lo, v96, 2
	v_add_co_ci_u32_e64 v12, null, 0, v97, vcc_lo
	v_cmpx_lt_u64_e64 v[13:14], v[11:12]
	s_cbranch_execz .LBB6_435
; %bb.424:                              ;   in Loop: Header=BB6_422 Depth=3
	v_and_b32_e32 v9, 64, v78
	s_mov_b32 s23, 0
	s_mov_b32 s28, 0
                                        ; implicit-def: $sgpr24
                                        ; implicit-def: $sgpr25
                                        ; implicit-def: $sgpr26
	v_cmp_eq_u32_e32 vcc_lo, 0, v9
	s_branch .LBB6_428
.LBB6_425:                              ;   in Loop: Header=BB6_428 Depth=4
	s_waitcnt vmcnt(0) lgkmcnt(0)
	v_add_co_u32 v13, s16, v80, v2
	v_add_co_ci_u32_e64 v14, null, 0, v81, s16
	s_or_b32 s78, s78, exec_lo
	v_cmp_ge_u64_e64 s16, v[13:14], v[11:12]
	s_orn2_b32 s77, s16, exec_lo
.LBB6_426:                              ;   in Loop: Header=BB6_428 Depth=4
	s_or_b32 exec_lo, exec_lo, s88
	s_andn2_b32 s16, s26, exec_lo
	s_and_b32 s26, s78, exec_lo
	s_andn2_b32 s25, s25, exec_lo
	s_and_b32 s77, s77, exec_lo
	s_or_b32 s26, s16, s26
	s_or_b32 s25, s25, s77
.LBB6_427:                              ;   in Loop: Header=BB6_428 Depth=4
	s_or_b32 exec_lo, exec_lo, s41
	s_and_b32 s16, exec_lo, s25
	s_or_b32 s23, s16, s23
	s_andn2_b32 s16, s24, exec_lo
	s_and_b32 s24, s26, exec_lo
	s_or_b32 s24, s16, s24
	s_andn2_b32 exec_lo, exec_lo, s23
	s_cbranch_execz .LBB6_432
.LBB6_428:                              ;   Parent Loop BB6_47 Depth=1
                                        ;     Parent Loop BB6_273 Depth=2
                                        ;       Parent Loop BB6_422 Depth=3
                                        ; =>      This Inner Loop Header: Depth=4
	s_sleep 1
	s_waitcnt vmcnt(0) lgkmcnt(0)
	flat_load_dwordx2 v[80:81], v[64:65] glc dlc
	s_or_b32 s26, s26, exec_lo
	s_or_b32 s25, s25, exec_lo
                                        ; implicit-def: $vgpr9
	s_and_saveexec_b32 s41, vcc_lo
	s_cbranch_execz .LBB6_427
; %bb.429:                              ;   in Loop: Header=BB6_428 Depth=4
	s_cmpk_lt_i32 s28, 0x270f
	s_mov_b32 s77, -1
	s_cselect_b32 s79, -1, 0
	s_cmpk_gt_i32 s28, 0x270e
	s_cbranch_scc0 .LBB6_431
; %bb.430:                              ;   in Loop: Header=BB6_428 Depth=4
	s_trap 2
	ds_read_b64 v[13:14], v0
	s_andn2_b32 s28, s79, exec_lo
	s_mov_b32 s78, 0
	s_waitcnt vmcnt(0) lgkmcnt(0)
	s_waitcnt_vscnt null, 0x0
	flat_load_dword v9, v[13:14] glc dlc
	s_waitcnt vmcnt(0) lgkmcnt(0)
	buffer_gl1_inv
	buffer_gl0_inv
	v_cmp_eq_u32_e64 s16, 0, v9
	s_and_b32 s16, s16, exec_lo
	s_or_b32 s79, s28, s16
	s_mov_b32 s28, 0
	s_and_saveexec_b32 s88, s79
	s_cbranch_execz .LBB6_426
	s_branch .LBB6_425
.LBB6_431:                              ;   in Loop: Header=BB6_428 Depth=4
	s_add_i32 s28, s28, 1
	s_mov_b32 s78, -1
                                        ; implicit-def: $vgpr9
	s_and_saveexec_b32 s88, s79
	s_cbranch_execz .LBB6_426
	s_branch .LBB6_425
.LBB6_432:                              ;   in Loop: Header=BB6_422 Depth=3
	s_or_b32 exec_lo, exec_lo, s23
	s_xor_b32 s16, s24, -1
	s_and_saveexec_b32 s23, s16
	s_xor_b32 s16, exec_lo, s23
	s_cbranch_execz .LBB6_434
; %bb.433:                              ;   in Loop: Header=BB6_422 Depth=3
	v_or_b32_e32 v78, 64, v78
	s_waitcnt vmcnt(0) lgkmcnt(0)
	s_waitcnt_vscnt null, 0x0
	ds_write_b32 v0, v9
	s_trap 2
.LBB6_434:                              ;   in Loop: Header=BB6_422 Depth=3
	s_or_b32 exec_lo, exec_lo, s16
.LBB6_435:                              ;   in Loop: Header=BB6_422 Depth=3
	s_or_b32 exec_lo, exec_lo, s22
	v_and_b32_e32 v9, 0x108, v78
	s_mov_b32 s16, exec_lo
	;;#ASMSTART
	s_wakeup
	;;#ASMEND
	v_cmpx_ne_u32_e32 0x108, v9
	s_xor_b32 s16, exec_lo, s16
                                        ; implicit-def: $vgpr17
; %bb.436:                              ;   in Loop: Header=BB6_422 Depth=3
	v_and_b32_e32 v17, 7, v96
                                        ; implicit-def: $vgpr96_vgpr97
; %bb.437:                              ;   in Loop: Header=BB6_422 Depth=3
	s_andn2_saveexec_b32 s16, s16
	s_cbranch_execz .LBB6_439
; %bb.438:                              ;   in Loop: Header=BB6_422 Depth=3
	v_and_b32_e32 v17, 7, v96
	v_ashrrev_i32_e32 v9, 31, v8
	v_mad_u64_u32 v[13:14], null, v17, 24, v[6:7]
	v_lshlrev_b64 v[15:16], 3, v[8:9]
	flat_store_dwordx2 v[13:14], v[15:16] offset:8
.LBB6_439:                              ;   in Loop: Header=BB6_422 Depth=3
	s_or_b32 exec_lo, exec_lo, s16
	v_and_b32_e32 v9, 0x100, v78
	s_mov_b32 s16, -1
	s_mov_b32 s22, exec_lo
                                        ; implicit-def: $vgpr13_vgpr14
	v_cmpx_ne_u32_e32 0, v9
	s_cbranch_execz .LBB6_443
; %bb.440:                              ;   in Loop: Header=BB6_422 Depth=3
	v_mad_u64_u32 v[15:16], null, v17, 24, v[6:7]
	s_mov_b32 s23, exec_lo
	v_mov_b32_e32 v9, v16
	v_mad_u64_u32 v[13:14], null, v3, 24, v[9:10]
	v_mov_b32_e32 v16, v13
                                        ; implicit-def: $vgpr13_vgpr14
	flat_load_dword v9, v[15:16]
	s_waitcnt vmcnt(0) lgkmcnt(0)
	v_cmp_ne_u32_e32 vcc_lo, 1, v9
	v_cmpx_eq_u32_e32 1, v9
	s_cbranch_execz .LBB6_442
; %bb.441:                              ;   in Loop: Header=BB6_422 Depth=3
	flat_load_dword v13, v[15:16] offset:4 glc dlc
	s_waitcnt vmcnt(0) lgkmcnt(0)
	v_ashrrev_i32_e32 v14, 31, v13
	v_lshrrev_b64 v[13:14], 3, v[13:14]
.LBB6_442:                              ;   in Loop: Header=BB6_422 Depth=3
	s_or_b32 exec_lo, exec_lo, s23
	s_orn2_b32 s16, vcc_lo, exec_lo
.LBB6_443:                              ;   in Loop: Header=BB6_422 Depth=3
	s_or_b32 exec_lo, exec_lo, s22
	s_and_saveexec_b32 s22, s16
; %bb.444:                              ;   in Loop: Header=BB6_422 Depth=3
	v_mul_lo_u32 v9, v3, v79
	v_mul_lo_u32 v15, v17, v88
	v_mad_u64_u32 v[13:14], null, v17, v79, 0
	v_add3_u32 v14, v14, v15, v9
; %bb.445:                              ;   in Loop: Header=BB6_422 Depth=3
	s_or_b32 exec_lo, exec_lo, s22
	v_cmp_eq_u32_e32 vcc_lo, 0, v2
	v_lshlrev_b64 v[13:14], 3, v[13:14]
	v_and_b32_e32 v9, 0x2000, v78
	s_mov_b32 s16, exec_lo
	v_cndmask_b32_e32 v2, 0xc8, v93, vcc_lo
	v_add_co_u32 v13, vcc_lo, v66, v13
	v_add_co_ci_u32_e64 v14, null, v67, v14, vcc_lo
	v_add_nc_u32_e32 v2, v0, v2
	ds_write_b64 v2, v[13:14] offset:584
	v_cmpx_ne_u32_e32 0, v9
	s_cbranch_execz .LBB6_447
; %bb.446:                              ;   in Loop: Header=BB6_422 Depth=3
	ds_read_b64 v[13:14], v0 offset:872
	s_waitcnt lgkmcnt(0)
	v_add_co_u32 v13, vcc_lo, v13, 1
	v_add_co_ci_u32_e64 v14, null, 0, v14, vcc_lo
	ds_write_b64 v0, v[13:14] offset:872
.LBB6_447:                              ;   in Loop: Header=BB6_422 Depth=3
	s_or_b32 exec_lo, exec_lo, s16
	v_mov_b32_e32 v97, v12
	v_mov_b32_e32 v96, v11
.LBB6_448:                              ;   in Loop: Header=BB6_422 Depth=3
	s_or_b32 exec_lo, exec_lo, s21
	s_xor_b32 s16, s20, -1
	s_and_b32 s16, exec_lo, s16
	s_or_b32 s19, s16, s19
	s_and_saveexec_b32 s16, s6
	s_cbranch_execz .LBB6_467
; %bb.449:                              ;   in Loop: Header=BB6_422 Depth=3
	s_and_saveexec_b32 s20, s46
	s_xor_b32 s20, exec_lo, s20
	s_cbranch_execz .LBB6_464
; %bb.450:                              ;   in Loop: Header=BB6_422 Depth=3
	s_and_saveexec_b32 s21, s11
	s_cbranch_execz .LBB6_463
; %bb.451:                              ;   in Loop: Header=BB6_422 Depth=3
	s_mov_b32 s23, exec_lo
	s_mov_b32 s22, exec_lo
	v_mbcnt_lo_u32_b32 v2, s23, 0
	s_waitcnt vmcnt(0) lgkmcnt(0)
	s_waitcnt_vscnt null, 0x0
	buffer_gl1_inv
	buffer_gl0_inv
	v_cmpx_eq_u32_e32 0, v2
	s_cbranch_execz .LBB6_453
; %bb.452:                              ;   in Loop: Header=BB6_422 Depth=3
	s_bcnt1_i32_b32 s23, s23
	v_mov_b32_e32 v2, s23
	ds_add_u64 v0, v[2:3]
	s_trap 2
.LBB6_453:                              ;   in Loop: Header=BB6_422 Depth=3
	s_or_b32 exec_lo, exec_lo, s22
	s_trap 2
	ds_read_b64 v[11:12], v0
	s_waitcnt lgkmcnt(0)
	buffer_gl0_inv
	v_add_co_u32 v70, vcc_lo, v70, v89
	v_add_co_ci_u32_e64 v71, null, 0, v71, vcc_lo
	s_mov_b32 s22, exec_lo
	v_cmpx_lt_u64_e64 v[11:12], v[70:71]
	s_cbranch_execz .LBB6_462
; %bb.454:                              ;   in Loop: Header=BB6_422 Depth=3
	s_mov_b32 s23, 0
	s_mov_b32 s26, 0
                                        ; implicit-def: $sgpr24
                                        ; implicit-def: $sgpr25
	s_inst_prefetch 0x1
	s_branch .LBB6_456
	.p2align	6
.LBB6_455:                              ;   in Loop: Header=BB6_456 Depth=4
	s_or_b32 exec_lo, exec_lo, s41
	s_and_b32 s28, exec_lo, s77
	s_or_b32 s23, s28, s23
	s_andn2_b32 s24, s24, exec_lo
	s_and_b32 s28, s25, exec_lo
	s_or_b32 s24, s24, s28
	s_andn2_b32 exec_lo, exec_lo, s23
	s_cbranch_execz .LBB6_460
.LBB6_456:                              ;   Parent Loop BB6_47 Depth=1
                                        ;     Parent Loop BB6_273 Depth=2
                                        ;       Parent Loop BB6_422 Depth=3
                                        ; =>      This Inner Loop Header: Depth=4
	s_add_i32 s26, s26, 1
	s_cmpk_lg_i32 s26, 0x2710
	s_cselect_b32 s28, -1, 0
	s_and_b32 vcc_lo, exec_lo, s28
	s_cbranch_vccz .LBB6_458
; %bb.457:                              ;   in Loop: Header=BB6_456 Depth=4
	s_mov_b32 s77, -1
	s_or_b32 s25, s25, exec_lo
	s_and_saveexec_b32 s41, s28
	s_cbranch_execz .LBB6_455
	s_branch .LBB6_459
	.p2align	6
.LBB6_458:                              ;   in Loop: Header=BB6_456 Depth=4
	s_trap 2
	ds_read_b64 v[11:12], v0
	s_andn2_b32 s28, s28, exec_lo
	s_mov_b32 s26, 0
	s_waitcnt lgkmcnt(0)
	flat_load_dword v2, v[11:12] glc dlc
	s_waitcnt vmcnt(0) lgkmcnt(0)
	buffer_gl1_inv
	buffer_gl0_inv
	v_cmp_eq_u32_e32 vcc_lo, 0, v2
	s_and_b32 s41, vcc_lo, exec_lo
	s_or_b32 s28, s28, s41
	s_mov_b32 s77, -1
	s_or_b32 s25, s25, exec_lo
	s_and_saveexec_b32 s41, s28
	s_cbranch_execz .LBB6_455
.LBB6_459:                              ;   in Loop: Header=BB6_456 Depth=4
	s_sleep 1
	s_trap 2
	ds_read_b64 v[11:12], v0
	s_waitcnt lgkmcnt(0)
	buffer_gl0_inv
	s_andn2_b32 s25, s25, exec_lo
	v_cmp_ge_u64_e32 vcc_lo, v[11:12], v[70:71]
	s_orn2_b32 s77, vcc_lo, exec_lo
	s_branch .LBB6_455
.LBB6_460:                              ;   in Loop: Header=BB6_422 Depth=3
	s_inst_prefetch 0x2
	s_or_b32 exec_lo, exec_lo, s23
	s_and_saveexec_b32 s23, s24
	s_xor_b32 s23, exec_lo, s23
	s_cbranch_execz .LBB6_462
; %bb.461:                              ;   in Loop: Header=BB6_422 Depth=3
	ds_write_b32 v0, v92
	s_trap 2
.LBB6_462:                              ;   in Loop: Header=BB6_422 Depth=3
	s_or_b32 exec_lo, exec_lo, s22
	;;#ASMSTART
	s_wakeup
	;;#ASMEND
.LBB6_463:                              ;   in Loop: Header=BB6_422 Depth=3
	s_or_b32 exec_lo, exec_lo, s21
.LBB6_464:                              ;   in Loop: Header=BB6_422 Depth=3
	s_andn2_saveexec_b32 s20, s20
	s_cbranch_execz .LBB6_466
; %bb.465:                              ;   in Loop: Header=BB6_422 Depth=3
	s_waitcnt vmcnt(0) lgkmcnt(0)
	s_waitcnt_vscnt null, 0x0
	buffer_gl1_inv
	buffer_gl0_inv
	s_barrier
.LBB6_466:                              ;   in Loop: Header=BB6_422 Depth=3
	s_or_b32 exec_lo, exec_lo, s20
.LBB6_467:                              ;   in Loop: Header=BB6_422 Depth=3
	s_or_b32 exec_lo, exec_lo, s16
                                        ; implicit-def: $vgpr2
	s_and_saveexec_b32 s16, s62
	s_xor_b32 s16, exec_lo, s16
	s_cbranch_execz .LBB6_479
; %bb.468:                              ;   in Loop: Header=BB6_422 Depth=3
	s_and_saveexec_b32 s20, s46
	s_xor_b32 s20, exec_lo, s20
	s_cbranch_execz .LBB6_484
; %bb.469:                              ;   in Loop: Header=BB6_422 Depth=3
	s_and_saveexec_b32 s21, s11
	s_cbranch_execz .LBB6_483
; %bb.470:                              ;   in Loop: Header=BB6_422 Depth=3
	s_mov_b32 s23, exec_lo
	s_mov_b32 s22, exec_lo
	v_mbcnt_lo_u32_b32 v2, s23, 0
	;;#ASMSTART
	s_waitcnt lgkmcnt(0) vmcnt(0)
	;;#ASMEND
	v_cmpx_eq_u32_e32 0, v2
	s_cbranch_execz .LBB6_472
; %bb.471:                              ;   in Loop: Header=BB6_422 Depth=3
	s_bcnt1_i32_b32 s23, s23
	v_mov_b32_e32 v2, s23
	s_waitcnt vmcnt(0) lgkmcnt(0)
	s_waitcnt_vscnt null, 0x0
	ds_add_u64 v0, v[2:3]
	s_trap 2
.LBB6_472:                              ;   in Loop: Header=BB6_422 Depth=3
	s_or_b32 exec_lo, exec_lo, s22
	s_trap 2
	ds_read_b64 v[11:12], v0
	s_waitcnt vmcnt(0) lgkmcnt(0)
	buffer_gl0_inv
	v_add_co_u32 v70, vcc_lo, v70, v89
	v_add_co_ci_u32_e64 v71, null, 0, v71, vcc_lo
	s_mov_b32 s22, exec_lo
	v_cmpx_lt_u64_e64 v[11:12], v[70:71]
	s_cbranch_execz .LBB6_482
; %bb.473:                              ;   in Loop: Header=BB6_422 Depth=3
	s_mov_b32 s23, 0
	s_mov_b32 s26, 0
                                        ; implicit-def: $sgpr24
                                        ; implicit-def: $sgpr25
	s_inst_prefetch 0x1
	s_branch .LBB6_475
	.p2align	6
.LBB6_474:                              ;   in Loop: Header=BB6_475 Depth=4
	s_or_b32 exec_lo, exec_lo, s41
	s_and_b32 s28, exec_lo, s77
	s_or_b32 s23, s28, s23
	s_andn2_b32 s24, s24, exec_lo
	s_and_b32 s28, s25, exec_lo
	s_or_b32 s24, s24, s28
	s_andn2_b32 exec_lo, exec_lo, s23
	s_cbranch_execz .LBB6_480
.LBB6_475:                              ;   Parent Loop BB6_47 Depth=1
                                        ;     Parent Loop BB6_273 Depth=2
                                        ;       Parent Loop BB6_422 Depth=3
                                        ; =>      This Inner Loop Header: Depth=4
	s_add_i32 s26, s26, 1
	s_cmpk_lg_i32 s26, 0x2710
	s_cselect_b32 s28, -1, 0
	s_and_b32 vcc_lo, exec_lo, s28
	s_cbranch_vccz .LBB6_477
; %bb.476:                              ;   in Loop: Header=BB6_475 Depth=4
	s_mov_b32 s77, -1
	s_or_b32 s25, s25, exec_lo
	s_and_saveexec_b32 s41, s28
	s_cbranch_execz .LBB6_474
	s_branch .LBB6_478
	.p2align	6
.LBB6_477:                              ;   in Loop: Header=BB6_475 Depth=4
	s_trap 2
	ds_read_b64 v[11:12], v0
	s_andn2_b32 s28, s28, exec_lo
	s_mov_b32 s26, 0
	s_waitcnt lgkmcnt(0)
	s_waitcnt_vscnt null, 0x0
	flat_load_dword v2, v[11:12] glc dlc
	s_waitcnt vmcnt(0) lgkmcnt(0)
	buffer_gl1_inv
	buffer_gl0_inv
	v_cmp_eq_u32_e32 vcc_lo, 0, v2
	s_and_b32 s41, vcc_lo, exec_lo
	s_or_b32 s28, s28, s41
	s_mov_b32 s77, -1
	s_or_b32 s25, s25, exec_lo
	s_and_saveexec_b32 s41, s28
	s_cbranch_execz .LBB6_474
.LBB6_478:                              ;   in Loop: Header=BB6_475 Depth=4
	s_sleep 1
	s_trap 2
	ds_read_b64 v[11:12], v0
	s_waitcnt lgkmcnt(0)
	buffer_gl0_inv
	s_andn2_b32 s25, s25, exec_lo
	v_cmp_ge_u64_e32 vcc_lo, v[11:12], v[70:71]
	s_orn2_b32 s77, vcc_lo, exec_lo
	s_branch .LBB6_474
.LBB6_479:                              ;   in Loop: Header=BB6_422 Depth=3
	s_andn2_saveexec_b32 s20, s16
	s_cbranch_execnz .LBB6_487
	s_branch .LBB6_490
.LBB6_480:                              ;   in Loop: Header=BB6_422 Depth=3
	s_inst_prefetch 0x2
	s_or_b32 exec_lo, exec_lo, s23
	s_and_saveexec_b32 s23, s24
	s_xor_b32 s23, exec_lo, s23
	s_cbranch_execz .LBB6_482
; %bb.481:                              ;   in Loop: Header=BB6_422 Depth=3
	ds_write_b32 v0, v92
	s_trap 2
.LBB6_482:                              ;   in Loop: Header=BB6_422 Depth=3
	s_or_b32 exec_lo, exec_lo, s22
	;;#ASMSTART
	s_wakeup
	;;#ASMEND
.LBB6_483:                              ;   in Loop: Header=BB6_422 Depth=3
	s_or_b32 exec_lo, exec_lo, s21
.LBB6_484:                              ;   in Loop: Header=BB6_422 Depth=3
	s_andn2_saveexec_b32 s20, s20
	s_cbranch_execz .LBB6_486
; %bb.485:                              ;   in Loop: Header=BB6_422 Depth=3
	;;#ASMSTART
	s_waitcnt lgkmcnt(0) vmcnt(0)
	;;#ASMEND
	s_barrier
.LBB6_486:                              ;   in Loop: Header=BB6_422 Depth=3
	s_or_b32 exec_lo, exec_lo, s20
	v_and_b32_e32 v2, 16, v78
	s_andn2_saveexec_b32 s20, s16
	s_cbranch_execz .LBB6_490
.LBB6_487:                              ;   in Loop: Header=BB6_422 Depth=3
	s_trap 2
	ds_read_b32 v2, v0
	v_cmp_lt_i32_e32 vcc_lo, 0, v8
	s_waitcnt lgkmcnt(0)
	v_readfirstlane_b32 s16, v2
	v_and_b32_e32 v2, 16, v78
	s_cmp_eq_u32 s16, 0
	v_cmp_ne_u32_e64 s16, 0, v2
	s_cselect_b32 s21, -1, 0
	v_and_b32_e32 v2, 16, v78
	s_and_b32 s21, vcc_lo, s21
	s_and_b32 s21, s16, s21
	s_and_saveexec_b32 s16, s21
	s_cbranch_execz .LBB6_489
; %bb.488:                              ;   in Loop: Header=BB6_422 Depth=3
	v_mov_b32_e32 v2, 1
	s_waitcnt vmcnt(0)
	s_waitcnt_vscnt null, 0x0
	buffer_gl1_inv
	buffer_gl0_inv
.LBB6_489:                              ;   in Loop: Header=BB6_422 Depth=3
	s_or_b32 exec_lo, exec_lo, s16
.LBB6_490:                              ;   in Loop: Header=BB6_422 Depth=3
	s_or_b32 exec_lo, exec_lo, s20
	v_cmp_ne_u32_e32 vcc_lo, 0, v2
	s_xor_b32 s16, s7, -1
	s_and_b32 s20, vcc_lo, s16
	s_and_saveexec_b32 s16, s20
	s_cbranch_execz .LBB6_492
; %bb.491:                              ;   in Loop: Header=BB6_422 Depth=3
	s_waitcnt vmcnt(0) lgkmcnt(0)
	s_waitcnt_vscnt null, 0x0
	flat_store_dword v[68:69], v92
.LBB6_492:                              ;   in Loop: Header=BB6_422 Depth=3
	s_or_b32 exec_lo, exec_lo, s16
	v_and_b32_e32 v2, 48, v78
	s_mov_b32 s16, exec_lo
	v_cmpx_ne_u32_e32 0, v2
	s_cbranch_execz .LBB6_421
; %bb.493:                              ;   in Loop: Header=BB6_422 Depth=3
	v_add_co_u32 v96, vcc_lo, v96, 2
	v_add_co_ci_u32_e64 v97, null, 0, v97, vcc_lo
	s_waitcnt vmcnt(0) lgkmcnt(0)
	s_waitcnt_vscnt null, 0x0
	flat_store_dwordx2 v[64:65], v[96:97]
	s_branch .LBB6_421
.LBB6_494:                              ;   in Loop: Header=BB6_47 Depth=1
	v_mul_lo_u32 v2, v87, s43
	v_mul_lo_u32 v10, v86, s45
	v_mad_u64_u32 v[8:9], null, v86, s43, 0
	v_mov_b32_e32 v112, 0
	v_add3_u32 v9, v9, v10, v2
	v_sub_co_u32 v10, vcc_lo, v98, v8
	v_sub_co_ci_u32_e64 v11, null, v99, v9, vcc_lo
	v_cmp_lt_i64_e32 vcc_lo, v[86:87], v[10:11]
	v_cndmask_b32_e32 v10, v10, v86, vcc_lo
	v_max_i32_e32 v126, 0, v10
	v_cmp_lt_i32_e32 vcc_lo, 0, v10
	v_add_nc_u32_e32 v2, 31, v126
	s_and_b32 s16, s72, vcc_lo
	v_lshrrev_b32_e32 v2, 1, v2
	v_and_b32_e32 v11, 0x3ffffff0, v2
	v_mov_b32_e32 v2, 0
	v_max_i32_e32 v102, s60, v11
	s_and_saveexec_b32 s41, s16
	s_cbranch_execz .LBB6_719
; %bb.495:                              ;   in Loop: Header=BB6_47 Depth=1
	v_add_co_u32 v8, vcc_lo, v8, v100
	v_add_co_ci_u32_e64 v9, null, v9, v101, vcc_lo
	v_mov_b32_e32 v112, 0
	s_mov_b32 s79, 1
	s_mov_b32 s78, -1
	v_lshlrev_b64 v[114:115], 3, v[8:9]
	s_mov_b32 s77, 0
	s_branch .LBB6_497
.LBB6_496:                              ;   in Loop: Header=BB6_497 Depth=2
	s_or_b32 exec_lo, exec_lo, s16
	v_add_nc_u32_e32 v112, v102, v112
	s_xor_b32 s16, s78, -1
	v_mov_b32_e32 v2, s79
	s_mov_b32 s78, 0
	s_mov_b32 s79, 2
	v_cmp_ge_i32_e32 vcc_lo, v112, v126
	s_or_b32 s16, s16, vcc_lo
	s_and_b32 s16, exec_lo, s16
	s_or_b32 s77, s16, s77
	s_andn2_b32 exec_lo, exec_lo, s77
	s_cbranch_execz .LBB6_718
.LBB6_497:                              ;   Parent Loop BB6_47 Depth=1
                                        ; =>  This Loop Header: Depth=2
                                        ;       Child Loop BB6_505 Depth 3
                                        ;       Child Loop BB6_533 Depth 3
	;; [unrolled: 1-line block ×5, first 2 shown]
                                        ;         Child Loop BB6_597 Depth 4
                                        ;       Child Loop BB6_611 Depth 3
                                        ;       Child Loop BB6_621 Depth 3
                                        ;         Child Loop BB6_622 Depth 4
                                        ;       Child Loop BB6_642 Depth 3
                                        ;       Child Loop BB6_652 Depth 3
	;; [unrolled: 1-line block ×6, first 2 shown]
	s_and_saveexec_b32 s17, s4
	s_cbranch_execz .LBB6_499
; %bb.498:                              ;   in Loop: Header=BB6_497 Depth=2
	s_trap 2
	ds_read2_b64 v[8:11], v0 offset1:1
	ds_read_b64 v[12:13], v0
	v_ashrrev_i32_e32 v113, 31, v112
	v_lshlrev_b64 v[14:15], 3, v[112:113]
	s_waitcnt lgkmcnt(1)
	v_add_co_u32 v2, vcc_lo, v8, v114
	v_add_co_ci_u32_e64 v9, null, v9, v115, vcc_lo
	v_add_co_u32 v10, vcc_lo, v10, v114
	v_add_co_ci_u32_e64 v11, null, v11, v115, vcc_lo
	s_waitcnt lgkmcnt(0)
	v_add_co_u32 v16, vcc_lo, v12, v114
	v_add_co_ci_u32_e64 v17, null, v13, v115, vcc_lo
	v_add_co_u32 v8, vcc_lo, v2, v14
	v_add_co_ci_u32_e64 v9, null, v9, v15, vcc_lo
	;; [unrolled: 2-line block ×3, first 2 shown]
	v_cmp_ne_u64_e32 vcc_lo, 0, v[12:13]
	v_add_co_u32 v10, s16, v10, v14
	v_add_co_ci_u32_e64 v11, null, v11, v15, s16
	v_cndmask_b32_e32 v13, 0, v16, vcc_lo
	v_cndmask_b32_e32 v12, 0, v2, vcc_lo
	ds_write_b64 v0, v[8:9]
	ds_write_b64 v0, v[10:11]
	ds_write_b64 v0, v[12:13]
.LBB6_499:                              ;   in Loop: Header=BB6_497 Depth=2
	s_or_b32 exec_lo, exec_lo, s17
	v_sub_nc_u32_e32 v2, v126, v112
	v_and_b32_e32 v8, 12, v78
	s_mov_b32 s17, exec_lo
	v_min_i32_e32 v102, v102, v2
	v_cmpx_ne_u32_e32 0, v8
	s_cbranch_execz .LBB6_525
; %bb.500:                              ;   in Loop: Header=BB6_497 Depth=2
	v_and_b32_e32 v2, 8, v78
	s_mov_b32 s18, exec_lo
	s_waitcnt vmcnt(0) lgkmcnt(1)
	v_add_co_u32 v10, vcc_lo, v80, v2
	v_add_co_ci_u32_e64 v11, null, 0, v81, vcc_lo
	v_add_co_u32 v8, vcc_lo, v96, 2
	v_add_co_ci_u32_e64 v9, null, 0, v97, vcc_lo
	v_cmpx_lt_u64_e64 v[10:11], v[8:9]
	s_cbranch_execz .LBB6_512
; %bb.501:                              ;   in Loop: Header=BB6_497 Depth=2
	v_and_b32_e32 v10, 64, v78
	s_mov_b32 s19, 0
	s_mov_b32 s23, 0
                                        ; implicit-def: $sgpr20
                                        ; implicit-def: $sgpr21
                                        ; implicit-def: $sgpr22
	v_cmp_eq_u32_e32 vcc_lo, 0, v10
	s_branch .LBB6_505
.LBB6_502:                              ;   in Loop: Header=BB6_505 Depth=3
	s_waitcnt vmcnt(0) lgkmcnt(0)
	v_add_co_u32 v11, s16, v80, v2
	v_add_co_ci_u32_e64 v12, null, 0, v81, s16
	s_or_b32 s26, s26, exec_lo
	v_cmp_ge_u64_e64 s16, v[11:12], v[8:9]
	s_orn2_b32 s25, s16, exec_lo
.LBB6_503:                              ;   in Loop: Header=BB6_505 Depth=3
	s_or_b32 exec_lo, exec_lo, s88
	s_andn2_b32 s16, s22, exec_lo
	s_and_b32 s22, s26, exec_lo
	s_andn2_b32 s21, s21, exec_lo
	s_and_b32 s25, s25, exec_lo
	s_or_b32 s22, s16, s22
	s_or_b32 s21, s21, s25
.LBB6_504:                              ;   in Loop: Header=BB6_505 Depth=3
	s_or_b32 exec_lo, exec_lo, s24
	s_and_b32 s16, exec_lo, s21
	s_or_b32 s19, s16, s19
	s_andn2_b32 s16, s20, exec_lo
	s_and_b32 s20, s22, exec_lo
	s_or_b32 s20, s16, s20
	s_andn2_b32 exec_lo, exec_lo, s19
	s_cbranch_execz .LBB6_509
.LBB6_505:                              ;   Parent Loop BB6_47 Depth=1
                                        ;     Parent Loop BB6_497 Depth=2
                                        ; =>    This Inner Loop Header: Depth=3
	s_sleep 1
	s_waitcnt vmcnt(0) lgkmcnt(0)
	flat_load_dwordx2 v[80:81], v[64:65] glc dlc
	s_or_b32 s22, s22, exec_lo
	s_or_b32 s21, s21, exec_lo
                                        ; implicit-def: $vgpr10
	s_and_saveexec_b32 s24, vcc_lo
	s_cbranch_execz .LBB6_504
; %bb.506:                              ;   in Loop: Header=BB6_505 Depth=3
	s_cmpk_lt_i32 s23, 0x270f
	s_mov_b32 s25, -1
	s_cselect_b32 s28, -1, 0
	s_cmpk_gt_i32 s23, 0x270e
	s_cbranch_scc0 .LBB6_508
; %bb.507:                              ;   in Loop: Header=BB6_505 Depth=3
	s_trap 2
	ds_read_b64 v[10:11], v0
	s_andn2_b32 s23, s28, exec_lo
	s_mov_b32 s26, 0
	s_waitcnt vmcnt(0) lgkmcnt(0)
	s_waitcnt_vscnt null, 0x0
	flat_load_dword v10, v[10:11] glc dlc
	s_waitcnt vmcnt(0) lgkmcnt(0)
	buffer_gl1_inv
	buffer_gl0_inv
	v_cmp_eq_u32_e64 s16, 0, v10
	s_and_b32 s16, s16, exec_lo
	s_or_b32 s28, s23, s16
	s_mov_b32 s23, 0
	s_and_saveexec_b32 s88, s28
	s_cbranch_execz .LBB6_503
	s_branch .LBB6_502
.LBB6_508:                              ;   in Loop: Header=BB6_505 Depth=3
	s_add_i32 s23, s23, 1
	s_mov_b32 s26, -1
                                        ; implicit-def: $vgpr10
	s_and_saveexec_b32 s88, s28
	s_cbranch_execz .LBB6_503
	s_branch .LBB6_502
.LBB6_509:                              ;   in Loop: Header=BB6_497 Depth=2
	s_or_b32 exec_lo, exec_lo, s19
	s_xor_b32 s16, s20, -1
	s_and_saveexec_b32 s19, s16
	s_xor_b32 s16, exec_lo, s19
	s_cbranch_execz .LBB6_511
; %bb.510:                              ;   in Loop: Header=BB6_497 Depth=2
	v_or_b32_e32 v78, 64, v78
	s_waitcnt vmcnt(0) lgkmcnt(0)
	s_waitcnt_vscnt null, 0x0
	ds_write_b32 v0, v10
	s_trap 2
.LBB6_511:                              ;   in Loop: Header=BB6_497 Depth=2
	s_or_b32 exec_lo, exec_lo, s16
.LBB6_512:                              ;   in Loop: Header=BB6_497 Depth=2
	s_or_b32 exec_lo, exec_lo, s18
	v_and_b32_e32 v10, 0x108, v78
	s_mov_b32 s16, exec_lo
	;;#ASMSTART
	s_wakeup
	;;#ASMEND
	v_cmpx_ne_u32_e32 0x108, v10
	s_xor_b32 s16, exec_lo, s16
                                        ; implicit-def: $vgpr14
; %bb.513:                              ;   in Loop: Header=BB6_497 Depth=2
	v_and_b32_e32 v14, 7, v96
                                        ; implicit-def: $vgpr96_vgpr97
; %bb.514:                              ;   in Loop: Header=BB6_497 Depth=2
	s_andn2_saveexec_b32 s16, s16
	s_cbranch_execz .LBB6_516
; %bb.515:                              ;   in Loop: Header=BB6_497 Depth=2
	v_and_b32_e32 v14, 7, v96
	v_ashrrev_i32_e32 v103, 31, v102
	v_mad_u64_u32 v[10:11], null, v14, 24, v[6:7]
	v_lshlrev_b64 v[12:13], 3, v[102:103]
	flat_store_dwordx2 v[10:11], v[12:13] offset:8
.LBB6_516:                              ;   in Loop: Header=BB6_497 Depth=2
	s_or_b32 exec_lo, exec_lo, s16
	v_and_b32_e32 v10, 0x100, v78
	s_mov_b32 s16, -1
	v_cmp_ne_u32_e32 vcc_lo, 0, v10
                                        ; implicit-def: $vgpr10_vgpr11
	s_and_saveexec_b32 s18, vcc_lo
	s_cbranch_execz .LBB6_520
; %bb.517:                              ;   in Loop: Header=BB6_497 Depth=2
	v_mad_u64_u32 v[12:13], null, v14, 24, v[6:7]
	v_mov_b32_e32 v10, v13
	v_mad_u64_u32 v[10:11], null, v3, 24, v[10:11]
	v_mov_b32_e32 v13, v10
	flat_load_dword v10, v[12:13]
	s_waitcnt vmcnt(0) lgkmcnt(0)
	v_cmp_eq_u32_e64 s16, 1, v10
	v_cmp_ne_u32_e32 vcc_lo, 1, v10
                                        ; implicit-def: $vgpr10_vgpr11
	s_and_saveexec_b32 s19, s16
	s_cbranch_execz .LBB6_519
; %bb.518:                              ;   in Loop: Header=BB6_497 Depth=2
	flat_load_dword v10, v[12:13] offset:4 glc dlc
	s_waitcnt vmcnt(0) lgkmcnt(0)
	v_ashrrev_i32_e32 v11, 31, v10
	v_lshrrev_b64 v[10:11], 3, v[10:11]
.LBB6_519:                              ;   in Loop: Header=BB6_497 Depth=2
	s_or_b32 exec_lo, exec_lo, s19
	s_orn2_b32 s16, vcc_lo, exec_lo
.LBB6_520:                              ;   in Loop: Header=BB6_497 Depth=2
	s_or_b32 exec_lo, exec_lo, s18
	s_and_saveexec_b32 s18, s16
; %bb.521:                              ;   in Loop: Header=BB6_497 Depth=2
	v_mul_lo_u32 v12, v3, v79
	v_mul_lo_u32 v13, v14, v88
	v_mad_u64_u32 v[10:11], null, v14, v79, 0
	v_add3_u32 v11, v11, v13, v12
; %bb.522:                              ;   in Loop: Header=BB6_497 Depth=2
	s_or_b32 exec_lo, exec_lo, s18
	v_cmp_eq_u32_e32 vcc_lo, 0, v2
	v_lshlrev_b64 v[10:11], 3, v[10:11]
	v_and_b32_e32 v12, 0x2000, v78
	s_mov_b32 s16, exec_lo
	v_cndmask_b32_e32 v2, 0xd0, v93, vcc_lo
	v_add_co_u32 v10, vcc_lo, v66, v10
	v_add_co_ci_u32_e64 v11, null, v67, v11, vcc_lo
	v_add_nc_u32_e32 v2, v0, v2
	ds_write_b64 v2, v[10:11] offset:584
	v_cmpx_ne_u32_e32 0, v12
	s_cbranch_execz .LBB6_524
; %bb.523:                              ;   in Loop: Header=BB6_497 Depth=2
	ds_read_b64 v[10:11], v0 offset:872
	s_waitcnt lgkmcnt(0)
	v_add_co_u32 v10, vcc_lo, v10, 1
	v_add_co_ci_u32_e64 v11, null, 0, v11, vcc_lo
	ds_write_b64 v0, v[10:11] offset:872
.LBB6_524:                              ;   in Loop: Header=BB6_497 Depth=2
	s_or_b32 exec_lo, exec_lo, s16
	v_mov_b32_e32 v97, v9
	v_mov_b32_e32 v96, v8
.LBB6_525:                              ;   in Loop: Header=BB6_497 Depth=2
	s_or_b32 exec_lo, exec_lo, s17
	s_and_saveexec_b32 s16, s6
	s_cbranch_execz .LBB6_544
; %bb.526:                              ;   in Loop: Header=BB6_497 Depth=2
	s_and_saveexec_b32 s17, s46
	s_xor_b32 s17, exec_lo, s17
	s_cbranch_execz .LBB6_541
; %bb.527:                              ;   in Loop: Header=BB6_497 Depth=2
	s_and_saveexec_b32 s18, s11
	s_cbranch_execz .LBB6_540
; %bb.528:                              ;   in Loop: Header=BB6_497 Depth=2
	s_mov_b32 s20, exec_lo
	s_mov_b32 s19, exec_lo
	v_mbcnt_lo_u32_b32 v2, s20, 0
	s_waitcnt vmcnt(0) lgkmcnt(0)
	s_waitcnt_vscnt null, 0x0
	buffer_gl1_inv
	buffer_gl0_inv
	v_cmpx_eq_u32_e32 0, v2
	s_cbranch_execz .LBB6_530
; %bb.529:                              ;   in Loop: Header=BB6_497 Depth=2
	s_bcnt1_i32_b32 s20, s20
	v_mov_b32_e32 v2, s20
	ds_add_u64 v0, v[2:3]
	s_trap 2
.LBB6_530:                              ;   in Loop: Header=BB6_497 Depth=2
	s_or_b32 exec_lo, exec_lo, s19
	s_trap 2
	ds_read_b64 v[8:9], v0
	s_waitcnt lgkmcnt(0)
	buffer_gl0_inv
	v_add_co_u32 v70, vcc_lo, v70, v89
	v_add_co_ci_u32_e64 v71, null, 0, v71, vcc_lo
	s_mov_b32 s19, exec_lo
	v_cmpx_lt_u64_e64 v[8:9], v[70:71]
	s_cbranch_execz .LBB6_539
; %bb.531:                              ;   in Loop: Header=BB6_497 Depth=2
	s_mov_b32 s20, 0
	s_mov_b32 s23, 0
                                        ; implicit-def: $sgpr21
                                        ; implicit-def: $sgpr22
	s_inst_prefetch 0x1
	s_branch .LBB6_533
	.p2align	6
.LBB6_532:                              ;   in Loop: Header=BB6_533 Depth=3
	s_or_b32 exec_lo, exec_lo, s25
	s_and_b32 s24, exec_lo, s26
	s_or_b32 s20, s24, s20
	s_andn2_b32 s21, s21, exec_lo
	s_and_b32 s24, s22, exec_lo
	s_or_b32 s21, s21, s24
	s_andn2_b32 exec_lo, exec_lo, s20
	s_cbranch_execz .LBB6_537
.LBB6_533:                              ;   Parent Loop BB6_47 Depth=1
                                        ;     Parent Loop BB6_497 Depth=2
                                        ; =>    This Inner Loop Header: Depth=3
	s_add_i32 s23, s23, 1
	s_cmpk_lg_i32 s23, 0x2710
	s_cselect_b32 s24, -1, 0
	s_and_b32 vcc_lo, exec_lo, s24
	s_cbranch_vccz .LBB6_535
; %bb.534:                              ;   in Loop: Header=BB6_533 Depth=3
	s_mov_b32 s26, -1
	s_or_b32 s22, s22, exec_lo
	s_and_saveexec_b32 s25, s24
	s_cbranch_execz .LBB6_532
	s_branch .LBB6_536
	.p2align	6
.LBB6_535:                              ;   in Loop: Header=BB6_533 Depth=3
	s_trap 2
	ds_read_b64 v[8:9], v0
	s_andn2_b32 s24, s24, exec_lo
	s_mov_b32 s23, 0
	s_waitcnt lgkmcnt(0)
	flat_load_dword v2, v[8:9] glc dlc
	s_waitcnt vmcnt(0) lgkmcnt(0)
	buffer_gl1_inv
	buffer_gl0_inv
	v_cmp_eq_u32_e32 vcc_lo, 0, v2
	s_and_b32 s25, vcc_lo, exec_lo
	s_or_b32 s24, s24, s25
	s_mov_b32 s26, -1
	s_or_b32 s22, s22, exec_lo
	s_and_saveexec_b32 s25, s24
	s_cbranch_execz .LBB6_532
.LBB6_536:                              ;   in Loop: Header=BB6_533 Depth=3
	s_sleep 1
	s_trap 2
	ds_read_b64 v[8:9], v0
	s_waitcnt lgkmcnt(0)
	buffer_gl0_inv
	s_andn2_b32 s22, s22, exec_lo
	v_cmp_ge_u64_e32 vcc_lo, v[8:9], v[70:71]
	s_orn2_b32 s26, vcc_lo, exec_lo
	s_branch .LBB6_532
.LBB6_537:                              ;   in Loop: Header=BB6_497 Depth=2
	s_inst_prefetch 0x2
	s_or_b32 exec_lo, exec_lo, s20
	s_and_saveexec_b32 s20, s21
	s_xor_b32 s20, exec_lo, s20
	s_cbranch_execz .LBB6_539
; %bb.538:                              ;   in Loop: Header=BB6_497 Depth=2
	ds_write_b32 v0, v92
	s_trap 2
.LBB6_539:                              ;   in Loop: Header=BB6_497 Depth=2
	s_or_b32 exec_lo, exec_lo, s19
	;;#ASMSTART
	s_wakeup
	;;#ASMEND
.LBB6_540:                              ;   in Loop: Header=BB6_497 Depth=2
	s_or_b32 exec_lo, exec_lo, s18
.LBB6_541:                              ;   in Loop: Header=BB6_497 Depth=2
	s_andn2_saveexec_b32 s17, s17
	s_cbranch_execz .LBB6_543
; %bb.542:                              ;   in Loop: Header=BB6_497 Depth=2
	s_waitcnt vmcnt(0) lgkmcnt(0)
	s_waitcnt_vscnt null, 0x0
	buffer_gl1_inv
	buffer_gl0_inv
	s_barrier
.LBB6_543:                              ;   in Loop: Header=BB6_497 Depth=2
	s_or_b32 exec_lo, exec_lo, s17
.LBB6_544:                              ;   in Loop: Header=BB6_497 Depth=2
	s_or_b32 exec_lo, exec_lo, s16
	s_trap 2
	ds_read_b32 v8, v0
	v_and_b32_e32 v2, 0x4000, v78
	s_xor_b32 s16, s5, -1
	v_cmp_ne_u32_e32 vcc_lo, 0, v2
	s_and_b32 s17, s16, vcc_lo
	s_and_saveexec_b32 s16, s17
	s_cbranch_execz .LBB6_563
; %bb.545:                              ;   in Loop: Header=BB6_497 Depth=2
	s_and_saveexec_b32 s17, s46
	s_xor_b32 s17, exec_lo, s17
	s_cbranch_execz .LBB6_560
; %bb.546:                              ;   in Loop: Header=BB6_497 Depth=2
	s_and_saveexec_b32 s18, s11
	s_cbranch_execz .LBB6_559
; %bb.547:                              ;   in Loop: Header=BB6_497 Depth=2
	s_mov_b32 s20, exec_lo
	s_mov_b32 s19, exec_lo
	v_mbcnt_lo_u32_b32 v2, s20, 0
	s_waitcnt vmcnt(0) lgkmcnt(0)
	s_waitcnt_vscnt null, 0x0
	buffer_gl1_inv
	buffer_gl0_inv
	v_cmpx_eq_u32_e32 0, v2
	s_cbranch_execz .LBB6_549
; %bb.548:                              ;   in Loop: Header=BB6_497 Depth=2
	s_bcnt1_i32_b32 s20, s20
	v_mov_b32_e32 v2, s20
	ds_add_u64 v0, v[2:3]
	s_trap 2
.LBB6_549:                              ;   in Loop: Header=BB6_497 Depth=2
	s_or_b32 exec_lo, exec_lo, s19
	s_trap 2
	ds_read_b64 v[9:10], v0
	s_waitcnt lgkmcnt(0)
	buffer_gl0_inv
	v_add_co_u32 v70, vcc_lo, v70, v89
	v_add_co_ci_u32_e64 v71, null, 0, v71, vcc_lo
	s_mov_b32 s19, exec_lo
	v_cmpx_lt_u64_e64 v[9:10], v[70:71]
	s_cbranch_execz .LBB6_558
; %bb.550:                              ;   in Loop: Header=BB6_497 Depth=2
	s_mov_b32 s20, 0
	s_mov_b32 s23, 0
                                        ; implicit-def: $sgpr21
                                        ; implicit-def: $sgpr22
	s_inst_prefetch 0x1
	s_branch .LBB6_552
	.p2align	6
.LBB6_551:                              ;   in Loop: Header=BB6_552 Depth=3
	s_or_b32 exec_lo, exec_lo, s25
	s_and_b32 s24, exec_lo, s26
	s_or_b32 s20, s24, s20
	s_andn2_b32 s21, s21, exec_lo
	s_and_b32 s24, s22, exec_lo
	s_or_b32 s21, s21, s24
	s_andn2_b32 exec_lo, exec_lo, s20
	s_cbranch_execz .LBB6_556
.LBB6_552:                              ;   Parent Loop BB6_47 Depth=1
                                        ;     Parent Loop BB6_497 Depth=2
                                        ; =>    This Inner Loop Header: Depth=3
	s_add_i32 s23, s23, 1
	s_cmpk_lg_i32 s23, 0x2710
	s_cselect_b32 s24, -1, 0
	s_and_b32 vcc_lo, exec_lo, s24
	s_cbranch_vccz .LBB6_554
; %bb.553:                              ;   in Loop: Header=BB6_552 Depth=3
	s_mov_b32 s26, -1
	s_or_b32 s22, s22, exec_lo
	s_and_saveexec_b32 s25, s24
	s_cbranch_execz .LBB6_551
	s_branch .LBB6_555
	.p2align	6
.LBB6_554:                              ;   in Loop: Header=BB6_552 Depth=3
	s_trap 2
	ds_read_b64 v[9:10], v0
	s_andn2_b32 s24, s24, exec_lo
	s_mov_b32 s23, 0
	s_waitcnt lgkmcnt(0)
	flat_load_dword v2, v[9:10] glc dlc
	s_waitcnt vmcnt(0) lgkmcnt(0)
	buffer_gl1_inv
	buffer_gl0_inv
	v_cmp_eq_u32_e32 vcc_lo, 0, v2
	s_and_b32 s25, vcc_lo, exec_lo
	s_or_b32 s24, s24, s25
	s_mov_b32 s26, -1
	s_or_b32 s22, s22, exec_lo
	s_and_saveexec_b32 s25, s24
	s_cbranch_execz .LBB6_551
.LBB6_555:                              ;   in Loop: Header=BB6_552 Depth=3
	s_sleep 1
	s_trap 2
	ds_read_b64 v[9:10], v0
	s_waitcnt lgkmcnt(0)
	buffer_gl0_inv
	s_andn2_b32 s22, s22, exec_lo
	v_cmp_ge_u64_e32 vcc_lo, v[9:10], v[70:71]
	s_orn2_b32 s26, vcc_lo, exec_lo
	s_branch .LBB6_551
.LBB6_556:                              ;   in Loop: Header=BB6_497 Depth=2
	s_inst_prefetch 0x2
	s_or_b32 exec_lo, exec_lo, s20
	s_and_saveexec_b32 s20, s21
	s_xor_b32 s20, exec_lo, s20
	s_cbranch_execz .LBB6_558
; %bb.557:                              ;   in Loop: Header=BB6_497 Depth=2
	ds_write_b32 v0, v92
	s_trap 2
.LBB6_558:                              ;   in Loop: Header=BB6_497 Depth=2
	s_or_b32 exec_lo, exec_lo, s19
	;;#ASMSTART
	s_wakeup
	;;#ASMEND
.LBB6_559:                              ;   in Loop: Header=BB6_497 Depth=2
	s_or_b32 exec_lo, exec_lo, s18
.LBB6_560:                              ;   in Loop: Header=BB6_497 Depth=2
	s_andn2_saveexec_b32 s17, s17
	s_cbranch_execz .LBB6_562
; %bb.561:                              ;   in Loop: Header=BB6_497 Depth=2
	s_waitcnt vmcnt(0) lgkmcnt(0)
	s_waitcnt_vscnt null, 0x0
	buffer_gl1_inv
	buffer_gl0_inv
	s_barrier
.LBB6_562:                              ;   in Loop: Header=BB6_497 Depth=2
	s_or_b32 exec_lo, exec_lo, s17
.LBB6_563:                              ;   in Loop: Header=BB6_497 Depth=2
	s_or_b32 exec_lo, exec_lo, s16
	s_trap 2
	ds_read_b64 v[116:117], v0
	s_waitcnt lgkmcnt(0)
	v_cmp_eq_u64_e32 vcc_lo, 0, v[116:117]
	s_cbranch_vccnz .LBB6_575
; %bb.564:                              ;   in Loop: Header=BB6_497 Depth=2
	s_trap 2
	ds_read_b64 v[118:119], v0
	s_waitcnt lgkmcnt(0)
	v_cmp_eq_u64_e32 vcc_lo, 0, v[118:119]
	s_cbranch_vccnz .LBB6_575
; %bb.565:                              ;   in Loop: Header=BB6_497 Depth=2
	s_trap 2
	ds_read_b64 v[40:41], v0
	v_cmp_eq_u32_e32 vcc_lo, 0, v8
	s_mov_b32 s16, -1
	v_cndmask_b32_e32 v103, 0, v102, vcc_lo
	v_lshlrev_b32_e32 v113, 3, v103
	s_waitcnt lgkmcnt(0)
	v_cmp_ne_u64_e32 vcc_lo, 0, v[40:41]
	s_cbranch_vccz .LBB6_625
; %bb.566:                              ;   in Loop: Header=BB6_497 Depth=2
	s_and_saveexec_b32 s17, s14
	s_cbranch_execz .LBB6_568
; %bb.567:                              ;   in Loop: Header=BB6_497 Depth=2
	ds_read_b32 v2, v0 offset:720
	s_waitcnt lgkmcnt(0)
	v_and_b32_e32 v2, 15, v2
	v_cmp_eq_u32_e32 vcc_lo, 0, v2
	s_orn2_b32 s16, vcc_lo, exec_lo
.LBB6_568:                              ;   in Loop: Header=BB6_497 Depth=2
	s_or_b32 exec_lo, exec_lo, s17
	s_and_saveexec_b32 s17, s14
	s_cbranch_execz .LBB6_570
; %bb.569:                              ;   in Loop: Header=BB6_497 Depth=2
	ds_read_b32 v2, v0 offset:784
	s_waitcnt lgkmcnt(0)
	v_and_b32_e32 v2, 15, v2
	v_cmp_eq_u32_e32 vcc_lo, 0, v2
	s_and_b32 s18, s16, vcc_lo
	s_andn2_b32 s16, s16, exec_lo
	s_and_b32 s18, s18, exec_lo
	s_or_b32 s16, s16, s18
.LBB6_570:                              ;   in Loop: Header=BB6_497 Depth=2
	s_or_b32 exec_lo, exec_lo, s17
	s_xor_b32 s16, s16, -1
	v_cndmask_b32_e64 v2, 0, 1, s16
	s_mov_b32 s16, -1
	v_cmp_ne_u32_e32 vcc_lo, 0, v2
	s_cbranch_vccz .LBB6_580
; %bb.571:                              ;   in Loop: Header=BB6_497 Depth=2
	v_alignbit_b32 v2, v40, v40, 1
	s_mov_b32 s89, -1
	v_readfirstlane_b32 s16, v2
	v_readfirstlane_b32 s88, v2
	s_and_b32 s26, s16, 0x7fffffff
	s_mov_b64 s[22:23], s[26:27]
	v_mov_b32_e32 v18, 0
	s_cbranch_execnz .LBB6_581
.LBB6_572:                              ;   in Loop: Header=BB6_497 Depth=2
	v_alignbit_b32 v2, v40, v40, 1
	v_mov_b32_e32 v42, -1
	v_mov_b32_e32 v43, -1
	v_readfirstlane_b32 s16, v2
	v_readfirstlane_b32 s88, v2
	s_and_b32 s26, s16, 0x7fffffff
	s_cmp_lt_i32 s26, 1
	s_cbranch_scc1 .LBB6_584
; %bb.573:                              ;   in Loop: Header=BB6_497 Depth=2
	s_cmp_lg_u32 s26, 1
	s_cbranch_scc1 .LBB6_582
; %bb.574:                              ;   in Loop: Header=BB6_497 Depth=2
	s_mov_b32 s28, s27
	s_mov_b64 s[18:19], 1
	s_mov_b64 s[16:17], s[28:29]
	s_branch .LBB6_583
.LBB6_575:                              ;   in Loop: Header=BB6_497 Depth=2
	s_mov_b32 s16, 0
	s_and_saveexec_b32 s17, s6
	s_cbranch_execnz .LBB6_677
.LBB6_576:                              ;   in Loop: Header=BB6_497 Depth=2
	s_or_b32 exec_lo, exec_lo, s17
                                        ; implicit-def: $vgpr2
	s_and_saveexec_b32 s17, s15
	s_xor_b32 s17, exec_lo, s17
	s_cbranch_execz .LBB6_695
.LBB6_577:                              ;   in Loop: Header=BB6_497 Depth=2
	v_and_b32_e32 v2, 16, v78
	v_cmp_ne_u32_e32 vcc_lo, 0, v2
	v_and_b32_e32 v2, 16, v78
	s_and_b32 s18, vcc_lo, s16
	s_and_saveexec_b32 s16, s18
	s_cbranch_execz .LBB6_579
; %bb.578:                              ;   in Loop: Header=BB6_497 Depth=2
	v_mov_b32_e32 v2, 1
	s_waitcnt vmcnt(0) lgkmcnt(0)
	s_waitcnt_vscnt null, 0x0
	buffer_gl1_inv
	buffer_gl0_inv
.LBB6_579:                              ;   in Loop: Header=BB6_497 Depth=2
	s_or_b32 exec_lo, exec_lo, s16
	s_andn2_saveexec_b32 s16, s17
	s_cbranch_execz .LBB6_714
	s_branch .LBB6_696
.LBB6_580:                              ;   in Loop: Header=BB6_497 Depth=2
	s_mov_b32 s89, 0
                                        ; implicit-def: $sgpr88
                                        ; implicit-def: $sgpr22_sgpr23
	v_mov_b32_e32 v18, 0
	s_andn2_b32 vcc_lo, exec_lo, s16
	s_cbranch_vccz .LBB6_572
.LBB6_581:                              ;   in Loop: Header=BB6_497 Depth=2
	v_mov_b32_e32 v19, v113
	v_mov_b32_e32 v2, v0
	;; [unrolled: 1-line block ×3, first 2 shown]
	s_and_saveexec_b32 s21, s89
	s_cbranch_execnz .LBB6_604
	s_branch .LBB6_624
.LBB6_582:                              ;   in Loop: Header=BB6_497 Depth=2
	s_mov_b64 s[18:19], 3
	s_mov_b64 s[16:17], 0
.LBB6_583:                              ;   in Loop: Header=BB6_497 Depth=2
	v_cmp_lt_u64_e64 s19, s[18:19], s[26:27]
	s_or_b32 s20, s17, 2.0
	s_and_b32 s19, s19, exec_lo
	s_cselect_b32 s19, 0, s26
	s_cselect_b32 s17, s17, s20
	s_sub_i32 s18, s18, s19
	s_mov_b32 s19, s27
	s_lshl_b32 s18, s18, 1
	s_or_b32 s20, s17, 0x20000000
	s_or_b32 s18, s18, 1
	v_cmp_lt_u64_e64 s19, s[18:19], s[26:27]
	s_and_b32 s19, s19, exec_lo
	s_cselect_b32 s19, 0, s26
	s_cselect_b32 s17, s17, s20
	s_cselect_b32 s20, 0, 0
	s_sub_u32 s18, s18, s19
	s_subb_u32 s19, 0, s20
	s_or_b32 s21, s17, 0x10000000
	s_lshl_b64 s[18:19], s[18:19], 1
	s_or_b32 s18, s18, 1
	v_cmp_lt_u64_e64 s20, s[18:19], s[26:27]
	s_and_b32 s20, s20, exec_lo
	s_cselect_b32 s20, 0, s26
	s_cselect_b32 s17, s17, s21
	s_cselect_b32 s21, 0, 0
	s_sub_u32 s18, s18, s20
	s_subb_u32 s19, s19, s21
	s_or_b32 s21, s17, 0x8000000
	s_lshl_b64 s[18:19], s[18:19], 1
	;; [unrolled: 10-line block ×30, first 2 shown]
	v_mov_b32_e32 v43, s17
	s_or_b32 s18, s18, 1
	v_cmp_lt_u64_e64 s20, s[18:19], s[26:27]
	s_and_b32 s20, s20, exec_lo
	s_cselect_b32 s20, 0, s26
	s_cselect_b32 s16, s16, s21
	;; [unrolled: 1-line block ×3, first 2 shown]
	s_sub_u32 s18, s18, s20
	s_subb_u32 s19, s19, s21
	s_or_b32 s21, s16, 2.0
	s_lshl_b64 s[18:19], s[18:19], 1
	s_or_b32 s18, s18, 1
	v_cmp_lt_u64_e64 s20, s[18:19], s[26:27]
	s_and_b32 s20, s20, exec_lo
	s_cselect_b32 s20, 0, s26
	s_cselect_b32 s16, s16, s21
	s_cselect_b32 s21, 0, 0
	s_sub_u32 s18, s18, s20
	s_subb_u32 s19, s19, s21
	s_or_b32 s21, s16, 0x20000000
	s_lshl_b64 s[18:19], s[18:19], 1
	s_or_b32 s18, s18, 1
	v_cmp_lt_u64_e64 s20, s[18:19], s[26:27]
	s_and_b32 s20, s20, exec_lo
	s_cselect_b32 s20, 0, s26
	s_cselect_b32 s16, s16, s21
	s_cselect_b32 s21, 0, 0
	s_sub_u32 s18, s18, s20
	s_subb_u32 s19, s19, s21
	s_or_b32 s21, s16, 0x10000000
	;; [unrolled: 10-line block ×29, first 2 shown]
	s_lshl_b64 s[18:19], s[18:19], 1
	s_or_b32 s18, s18, 1
	v_cmp_lt_u64_e64 s20, s[18:19], s[26:27]
	s_and_b32 s20, s20, exec_lo
	s_cselect_b32 s20, 0, s26
	s_cselect_b32 s16, s16, s21
	;; [unrolled: 1-line block ×3, first 2 shown]
	s_sub_u32 s18, s18, s20
	s_subb_u32 s19, s19, s21
	s_lshl_b64 s[18:19], s[18:19], 1
	s_or_b32 s18, s18, 1
	v_cmp_ge_u64_e64 s18, s[18:19], s[26:27]
	v_cndmask_b32_e64 v2, 0, 1, s18
	v_or_b32_e32 v42, s16, v2
.LBB6_584:                              ;   in Loop: Header=BB6_497 Depth=2
	v_ashrrev_i32_e32 v2, 31, v113
	s_mov_b32 s28, exec_lo
	v_lshrrev_b32_e32 v2, 21, v2
	v_add_nc_u32_e32 v2, v113, v2
	v_ashrrev_i32_e32 v53, 11, v2
	v_sub_nc_u32_e32 v52, v53, v91
	v_cmpx_lt_i32_e32 0, v52
	s_cbranch_execz .LBB6_588
; %bb.585:                              ;   in Loop: Header=BB6_497 Depth=2
	s_trap 2
	ds_read_b64 v[8:9], v0
	v_add_co_u32 v44, vcc_lo, v116, v108
	v_add_co_ci_u32_e64 v45, null, 0, v117, vcc_lo
	v_add_co_u32 v46, vcc_lo, v118, v108
	v_add_co_ci_u32_e64 v47, null, 0, v119, vcc_lo
	s_cmp_lt_i32 s88, 0
	s_mov_b32 s90, 0
	s_cselect_b32 s91, -1, 0
	s_waitcnt lgkmcnt(0)
	v_add_co_u32 v56, vcc_lo, v8, v108
	v_add_co_ci_u32_e64 v57, null, 0, v9, vcc_lo
	v_add_co_u32 v58, vcc_lo, v40, v108
	v_add_co_ci_u32_e64 v59, null, 0, v41, vcc_lo
.LBB6_586:                              ;   Parent Loop BB6_47 Depth=1
                                        ;     Parent Loop BB6_497 Depth=2
                                        ; =>    This Inner Loop Header: Depth=3
	global_load_dwordx4 v[36:39], v[56:57], off slc
	s_clause 0x1
	global_load_dwordx4 v[48:51], v[44:45], off slc
	global_load_dwordx4 v[24:27], v[44:45], off offset:512 slc
	s_clause 0x1
	global_load_dwordx4 v[32:35], v[56:57], off offset:512 slc
	global_load_dwordx4 v[16:19], v[56:57], off offset:1024 slc
	s_clause 0x1
	global_load_dwordx4 v[20:23], v[44:45], off offset:1024 slc
	global_load_dwordx4 v[8:11], v[44:45], off offset:1536 slc
	;; [unrolled: 1-line block ×3, first 2 shown]
	v_mov_b32_e32 v61, v3
	v_mov_b32_e32 v62, v3
	;; [unrolled: 1-line block ×8, first 2 shown]
	v_sub_nc_u32_e32 v52, v52, v89
	v_add_co_u32 v44, vcc_lo, v44, v107
	v_add_co_ci_u32_e64 v45, null, 0, v45, vcc_lo
	v_add_co_u32 v56, vcc_lo, v56, v107
	v_add_co_ci_u32_e64 v57, null, 0, v57, vcc_lo
	v_cmp_gt_i32_e32 vcc_lo, 1, v52
	s_waitcnt vmcnt(6)
	v_add_co_u32 v36, s16, v36, v48
	v_add_co_ci_u32_e64 v37, null, v37, v49, s16
	v_add_co_u32 v38, s16, v38, v50
	v_add_co_ci_u32_e64 v39, null, v39, v51, s16
	s_waitcnt vmcnt(4)
	v_add_co_u32 v24, s16, v32, v24
	v_add_co_ci_u32_e64 v25, null, v33, v25, s16
	v_add_co_u32 v26, s16, v34, v26
	v_add_co_ci_u32_e64 v27, null, v35, v27, s16
	;; [unrolled: 5-line block ×3, first 2 shown]
	s_waitcnt vmcnt(0)
	v_add_co_u32 v8, s16, v12, v8
	v_add_co_ci_u32_e64 v9, null, v13, v9, s16
	v_add_co_u32 v10, s16, v14, v10
	v_sub_co_u32 v13, s18, 0, v38
	v_sub_co_u32 v21, s20, 0, v26
	v_add_co_ci_u32_e64 v11, null, v15, v11, s16
	v_cmp_gt_i64_e64 s16, 0, v[36:37]
	v_sub_co_ci_u32_e64 v14, null, 0, v39, s18
	v_cmp_gt_i64_e64 s18, 0, v[24:25]
	v_sub_co_ci_u32_e64 v22, null, 0, v27, s20
	v_cmp_gt_i64_e64 s20, 0, v[16:17]
	v_sub_co_u32 v15, s19, 0, v24
	v_sub_co_u32 v23, s21, 0, v16
	;; [unrolled: 1-line block ×3, first 2 shown]
	v_sub_co_ci_u32_e64 v20, null, 0, v25, s19
	v_sub_co_ci_u32_e64 v32, null, 0, v17, s21
	s_and_b32 s16, s91, s16
	s_and_b32 s18, s91, s18
	;; [unrolled: 1-line block ×3, first 2 shown]
	v_cndmask_b32_e64 v20, v25, v20, s18
	v_cndmask_b32_e64 v25, v17, v32, s20
	v_cndmask_b32_e64 v17, v36, v2, s16
	v_sub_co_ci_u32_e64 v12, null, 0, v37, s17
	v_sub_co_u32 v33, s22, 0, v18
	v_cmp_gt_i64_e64 s19, 0, v[26:27]
	v_cmp_gt_i64_e64 s21, 0, v[18:19]
	v_sub_co_ci_u32_e64 v34, null, 0, v19, s22
	v_cmp_gt_i64_e64 s22, 0, v[8:9]
	v_mul_hi_u32 v2, v17, v42
	v_sub_co_u32 v35, s23, 0, v8
	v_sub_co_ci_u32_e64 v48, null, 0, v9, s23
	v_cndmask_b32_e64 v37, v37, v12, s16
	s_and_b32 s19, s91, s19
	s_and_b32 s21, s91, s21
	;; [unrolled: 1-line block ×3, first 2 shown]
	v_cndmask_b32_e64 v21, v26, v21, s19
	v_cndmask_b32_e64 v32, v9, v48, s22
	;; [unrolled: 1-line block ×4, first 2 shown]
	v_mad_u64_u32 v[8:9], null, v37, v42, v[2:3]
	v_cmp_gt_i64_e64 s17, 0, v[38:39]
	v_cmp_gt_i64_e64 s23, 0, v[10:11]
	v_sub_co_u32 v49, s24, 0, v10
	v_sub_co_ci_u32_e64 v50, null, 0, v11, s24
	v_mov_b32_e32 v2, v8
	v_mov_b32_e32 v60, v9
	s_and_b32 s17, s91, s17
	s_and_b32 s23, s91, s23
	v_cndmask_b32_e64 v22, v27, v22, s19
	v_cndmask_b32_e64 v27, v19, v34, s21
	;; [unrolled: 1-line block ×5, first 2 shown]
	v_mad_u64_u32 v[8:9], null, v17, v43, v[2:3]
	v_mad_u64_u32 v[10:11], null, v37, v43, v[60:61]
	v_mul_hi_u32 v2, v19, v42
	v_cndmask_b32_e64 v39, v39, v14, s17
	v_cndmask_b32_e64 v24, v24, v15, s18
	;; [unrolled: 1-line block ×3, first 2 shown]
	s_or_b32 s90, vcc_lo, s90
	v_add_co_u32 v15, s24, v10, v9
	v_mad_u64_u32 v[8:9], null, v39, v42, v[2:3]
	v_add_co_ci_u32_e64 v16, null, 0, v11, s24
	v_mad_u64_u32 v[10:11], null, v15, s26, 0
	v_mov_b32_e32 v2, v8
	v_mov_b32_e32 v61, v9
	;; [unrolled: 1-line block ×3, first 2 shown]
	v_mad_u64_u32 v[11:12], null, v19, v43, v[2:3]
	v_mad_u64_u32 v[13:14], null, v39, v43, v[61:62]
	;; [unrolled: 1-line block ×3, first 2 shown]
	v_mul_hi_u32 v2, v24, v42
	v_sub_co_u32 v9, s24, v17, v10
	v_add_co_u32 v17, s25, v13, v12
	v_sub_co_ci_u32_e64 v10, null, v37, v8, s24
	v_mad_u64_u32 v[11:12], null, v20, v42, v[2:3]
	v_add_co_ci_u32_e64 v18, null, 0, v14, s25
	v_cmp_le_u64_e64 s24, s[26:27], v[9:10]
	v_mad_u64_u32 v[13:14], null, v17, s26, 0
	v_mov_b32_e32 v2, v11
	v_mov_b32_e32 v62, v12
	v_cndmask_b32_e64 v36, 0, 1, s24
	v_mad_u64_u32 v[9:10], null, v24, v43, v[2:3]
	v_add_co_u32 v36, s24, v15, v36
	v_mov_b32_e32 v8, v14
	v_add_co_ci_u32_e64 v9, null, 0, v16, s24
	v_mad_u64_u32 v[11:12], null, v20, v43, v[62:63]
	v_mul_hi_u32 v2, v21, v42
	v_mad_u64_u32 v[14:15], null, v18, s26, v[8:9]
	v_sub_co_u32 v13, s24, v19, v13
	v_sub_co_u32 v8, s25, 0, v36
	v_sub_co_ci_u32_e64 v15, null, 0, v9, s25
	v_sub_co_ci_u32_e64 v14, null, v39, v14, s24
	v_add_co_u32 v19, s25, v11, v10
	v_mad_u64_u32 v[10:11], null, v22, v42, v[2:3]
	v_cndmask_b32_e64 v9, v9, v15, s16
	v_cndmask_b32_e64 v8, v36, v8, s16
	v_cmp_le_u64_e64 s16, s[26:27], v[13:14]
	v_mad_u64_u32 v[15:16], null, v19, s26, 0
	v_add_co_ci_u32_e64 v37, null, 0, v12, s25
	v_mov_b32_e32 v2, v10
	v_cndmask_b32_e64 v36, 0, 1, s16
	v_mov_b32_e32 v72, v11
	v_mov_b32_e32 v10, v16
	v_mad_u64_u32 v[11:12], null, v21, v43, v[2:3]
	v_add_co_u32 v36, s16, v17, v36
	v_add_co_ci_u32_e64 v11, null, 0, v18, s16
	v_mad_u64_u32 v[13:14], null, v22, v43, v[72:73]
	v_mul_hi_u32 v2, v23, v42
	v_mad_u64_u32 v[16:17], null, v37, s26, v[10:11]
	v_sub_co_u32 v15, s16, v24, v15
	v_sub_co_u32 v10, s24, 0, v36
	v_sub_co_ci_u32_e64 v17, null, 0, v11, s24
	v_sub_co_ci_u32_e64 v16, null, v20, v16, s16
	v_add_co_u32 v24, s24, v13, v12
	v_mad_u64_u32 v[12:13], null, v25, v42, v[2:3]
	v_cmp_le_u64_e64 s16, s[26:27], v[15:16]
	v_cndmask_b32_e64 v11, v11, v17, s17
	v_mad_u64_u32 v[17:18], null, v24, s26, 0
	v_add_co_ci_u32_e64 v38, null, 0, v14, s24
	v_cndmask_b32_e64 v20, 0, 1, s16
	v_mov_b32_e32 v2, v12
	v_mov_b32_e32 v73, v13
	v_cndmask_b32_e64 v10, v36, v10, s17
	v_mov_b32_e32 v12, v18
	v_add_co_u32 v20, s16, v19, v20
	v_mad_u64_u32 v[13:14], null, v23, v43, v[2:3]
	v_add_co_ci_u32_e64 v13, null, 0, v37, s16
	v_mad_u64_u32 v[15:16], null, v25, v43, v[73:74]
	v_mul_hi_u32 v2, v26, v42
	v_mad_u64_u32 v[18:19], null, v38, s26, v[12:13]
	v_sub_co_u32 v17, s16, v21, v17
	v_sub_co_u32 v12, s17, 0, v20
	v_sub_co_ci_u32_e64 v19, null, 0, v13, s17
	v_sub_co_ci_u32_e64 v18, null, v22, v18, s16
	v_add_co_u32 v36, s17, v15, v14
	v_mad_u64_u32 v[14:15], null, v27, v42, v[2:3]
	v_cmp_le_u64_e64 s16, s[26:27], v[17:18]
	v_cndmask_b32_e64 v13, v13, v19, s18
	v_cndmask_b32_e64 v12, v20, v12, s18
	v_mad_u64_u32 v[19:20], null, v36, s26, 0
	v_add_co_ci_u32_e64 v37, null, 0, v16, s17
	v_cndmask_b32_e64 v21, 0, 1, s16
	v_mov_b32_e32 v2, v14
	v_mov_b32_e32 v74, v15
	global_store_dwordx4 v[46:47], v[8:11], off glc slc
	v_mov_b32_e32 v14, v20
	v_add_co_u32 v22, s16, v24, v21
	v_mad_u64_u32 v[15:16], null, v26, v43, v[2:3]
	v_add_co_ci_u32_e64 v15, null, 0, v38, s16
	v_mad_u64_u32 v[17:18], null, v27, v43, v[74:75]
	v_mul_hi_u32 v2, v33, v42
	v_mad_u64_u32 v[20:21], null, v37, s26, v[14:15]
	v_sub_co_u32 v19, s16, v23, v19
	v_sub_co_u32 v14, s17, 0, v22
	v_sub_co_ci_u32_e64 v21, null, 0, v15, s17
	v_sub_co_ci_u32_e64 v20, null, v25, v20, s16
	v_add_co_u32 v38, s17, v17, v16
	v_mad_u64_u32 v[16:17], null, v32, v42, v[2:3]
	v_cmp_le_u64_e64 s16, s[26:27], v[19:20]
	v_cndmask_b32_e64 v15, v15, v21, s19
	v_cndmask_b32_e64 v14, v22, v14, s19
	v_mad_u64_u32 v[21:22], null, v38, s26, 0
	v_add_co_ci_u32_e64 v39, null, 0, v18, s17
	v_cndmask_b32_e64 v23, 0, 1, s16
	v_mov_b32_e32 v2, v16
	v_mov_b32_e32 v75, v17
	global_store_dwordx4 v[46:47], v[12:15], off offset:512 glc slc
	v_mov_b32_e32 v16, v22
	v_add_co_u32 v24, s16, v36, v23
	v_mad_u64_u32 v[17:18], null, v33, v43, v[2:3]
	v_add_co_ci_u32_e64 v17, null, 0, v37, s16
	v_mad_u64_u32 v[19:20], null, v32, v43, v[75:76]
	v_mul_hi_u32 v2, v35, v42
	v_mad_u64_u32 v[22:23], null, v39, s26, v[16:17]
	v_sub_co_u32 v21, s16, v26, v21
	v_sub_co_u32 v16, s17, 0, v24
	v_sub_co_ci_u32_e64 v23, null, 0, v17, s17
	v_sub_co_ci_u32_e64 v22, null, v27, v22, s16
	v_add_co_u32 v26, s17, v19, v18
	v_mad_u64_u32 v[18:19], null, v34, v42, v[2:3]
	v_cmp_le_u64_e64 s16, s[26:27], v[21:22]
	v_cndmask_b32_e64 v17, v17, v23, s20
	v_cndmask_b32_e64 v16, v24, v16, s20
	v_mad_u64_u32 v[23:24], null, v26, s26, 0
	v_add_co_ci_u32_e64 v36, null, 0, v20, s17
	v_mov_b32_e32 v2, v18
	v_cndmask_b32_e64 v25, 0, 1, s16
	v_mov_b32_e32 v76, v19
	v_mov_b32_e32 v18, v24
	v_mad_u64_u32 v[19:20], null, v35, v43, v[2:3]
	v_add_co_u32 v2, s16, v38, v25
	v_add_co_ci_u32_e64 v19, null, 0, v39, s16
	v_mad_u64_u32 v[21:22], null, v34, v43, v[76:77]
	v_sub_co_u32 v23, s16, v33, v23
	v_mad_u64_u32 v[24:25], null, v36, s26, v[18:19]
	v_sub_co_u32 v18, s17, 0, v2
	v_sub_co_ci_u32_e64 v25, null, 0, v19, s17
	v_add_co_u32 v27, s17, v21, v20
	v_sub_co_ci_u32_e64 v24, null, v32, v24, s16
	v_add_co_ci_u32_e64 v33, null, 0, v22, s17
	v_mad_u64_u32 v[20:21], null, v27, s26, 0
	v_cmp_le_u64_e64 s16, s[26:27], v[23:24]
	v_cndmask_b32_e64 v18, v2, v18, s21
	v_cndmask_b32_e64 v19, v19, v25, s21
	;; [unrolled: 1-line block ×3, first 2 shown]
	v_mov_b32_e32 v2, v21
	global_store_dwordx4 v[46:47], v[16:19], off offset:1024 glc slc
	v_add_co_u32 v24, s16, v26, v22
	v_add_co_ci_u32_e64 v21, null, 0, v36, s16
	v_mad_u64_u32 v[22:23], null, v33, s26, v[2:3]
	v_sub_co_u32 v2, s17, 0, v24
	v_sub_co_u32 v23, s16, v35, v20
	v_sub_co_ci_u32_e64 v20, null, 0, v21, s17
	v_cndmask_b32_e64 v21, v21, v20, s22
	v_cndmask_b32_e64 v20, v24, v2, s22
	v_sub_co_ci_u32_e64 v24, null, v34, v22, s16
	v_cmp_le_u64_e64 s16, s[26:27], v[23:24]
	v_cndmask_b32_e64 v2, 0, 1, s16
	v_add_co_u32 v2, s16, v27, v2
	v_add_co_ci_u32_e64 v22, null, 0, v33, s16
	v_sub_co_u32 v24, s16, 0, v2
	v_sub_co_ci_u32_e64 v23, null, 0, v22, s16
	v_cndmask_b32_e64 v23, v22, v23, s23
	v_cndmask_b32_e64 v22, v2, v24, s23
	global_store_dwordx4 v[46:47], v[20:23], off offset:1536 glc slc
	global_store_dwordx4 v[58:59], v[8:11], off glc slc
	global_store_dwordx4 v[58:59], v[12:15], off offset:512 glc slc
	global_store_dwordx4 v[58:59], v[16:19], off offset:1024 glc slc
	;; [unrolled: 1-line block ×3, first 2 shown]
	v_add_co_u32 v46, s16, v46, v107
	v_add_co_ci_u32_e64 v47, null, 0, v47, s16
	v_add_co_u32 v58, s16, v58, v107
	v_add_co_ci_u32_e64 v59, null, 0, v59, s16
	s_andn2_b32 exec_lo, exec_lo, s90
	s_cbranch_execnz .LBB6_586
; %bb.587:                              ;   in Loop: Header=BB6_497 Depth=2
	s_or_b32 exec_lo, exec_lo, s90
.LBB6_588:                              ;   in Loop: Header=BB6_497 Depth=2
	s_or_b32 exec_lo, exec_lo, s28
	v_lshlrev_b32_e32 v21, 11, v53
	s_mov_b32 s22, exec_lo
                                        ; implicit-def: $vgpr19
                                        ; implicit-def: $vgpr18
                                        ; implicit-def: $vgpr2
                                        ; implicit-def: $vgpr20
	v_cmpx_ne_u32_e64 v113, v21
	s_cbranch_execz .LBB6_603
; %bb.589:                              ;   in Loop: Header=BB6_497 Depth=2
	v_mov_b32_e32 v12, -1
	v_mov_b32_e32 v13, -1
	s_cmp_lt_i32 s26, 1
	s_cbranch_scc1 .LBB6_594
; %bb.590:                              ;   in Loop: Header=BB6_497 Depth=2
	s_cmp_lg_u32 s26, 1
	s_cbranch_scc1 .LBB6_592
; %bb.591:                              ;   in Loop: Header=BB6_497 Depth=2
	s_mov_b32 s28, s27
	s_mov_b64 s[18:19], 1
	s_mov_b64 s[16:17], s[28:29]
	s_branch .LBB6_593
.LBB6_592:                              ;   in Loop: Header=BB6_497 Depth=2
	s_mov_b64 s[18:19], 3
	s_mov_b64 s[16:17], 0
.LBB6_593:                              ;   in Loop: Header=BB6_497 Depth=2
	v_cmp_lt_u64_e64 s19, s[18:19], s[26:27]
	s_or_b32 s20, s17, 2.0
	s_and_b32 s19, s19, exec_lo
	s_cselect_b32 s19, 0, s26
	s_cselect_b32 s17, s17, s20
	s_sub_i32 s18, s18, s19
	s_mov_b32 s19, s27
	s_lshl_b32 s18, s18, 1
	s_or_b32 s20, s17, 0x20000000
	s_or_b32 s18, s18, 1
	v_cmp_lt_u64_e64 s19, s[18:19], s[26:27]
	s_and_b32 s19, s19, exec_lo
	s_cselect_b32 s19, 0, s26
	s_cselect_b32 s17, s17, s20
	s_cselect_b32 s20, 0, 0
	s_sub_u32 s18, s18, s19
	s_subb_u32 s19, 0, s20
	s_or_b32 s21, s17, 0x10000000
	s_lshl_b64 s[18:19], s[18:19], 1
	s_or_b32 s18, s18, 1
	v_cmp_lt_u64_e64 s20, s[18:19], s[26:27]
	s_and_b32 s20, s20, exec_lo
	s_cselect_b32 s20, 0, s26
	s_cselect_b32 s17, s17, s21
	s_cselect_b32 s21, 0, 0
	s_sub_u32 s18, s18, s20
	s_subb_u32 s19, s19, s21
	s_or_b32 s21, s17, 0x8000000
	s_lshl_b64 s[18:19], s[18:19], 1
	;; [unrolled: 10-line block ×30, first 2 shown]
	v_mov_b32_e32 v13, s17
	s_or_b32 s18, s18, 1
	v_cmp_lt_u64_e64 s20, s[18:19], s[26:27]
	s_and_b32 s20, s20, exec_lo
	s_cselect_b32 s20, 0, s26
	s_cselect_b32 s16, s16, s21
	s_cselect_b32 s21, 0, 0
	s_sub_u32 s18, s18, s20
	s_subb_u32 s19, s19, s21
	s_or_b32 s21, s16, 2.0
	s_lshl_b64 s[18:19], s[18:19], 1
	s_or_b32 s18, s18, 1
	v_cmp_lt_u64_e64 s20, s[18:19], s[26:27]
	s_and_b32 s20, s20, exec_lo
	s_cselect_b32 s20, 0, s26
	s_cselect_b32 s16, s16, s21
	s_cselect_b32 s21, 0, 0
	s_sub_u32 s18, s18, s20
	s_subb_u32 s19, s19, s21
	s_or_b32 s21, s16, 0x20000000
	s_lshl_b64 s[18:19], s[18:19], 1
	s_or_b32 s18, s18, 1
	v_cmp_lt_u64_e64 s20, s[18:19], s[26:27]
	s_and_b32 s20, s20, exec_lo
	s_cselect_b32 s20, 0, s26
	s_cselect_b32 s16, s16, s21
	s_cselect_b32 s21, 0, 0
	s_sub_u32 s18, s18, s20
	s_subb_u32 s19, s19, s21
	s_or_b32 s21, s16, 0x10000000
	;; [unrolled: 10-line block ×29, first 2 shown]
	s_lshl_b64 s[18:19], s[18:19], 1
	s_or_b32 s18, s18, 1
	v_cmp_lt_u64_e64 s20, s[18:19], s[26:27]
	s_and_b32 s20, s20, exec_lo
	s_cselect_b32 s20, 0, s26
	s_cselect_b32 s16, s16, s21
	;; [unrolled: 1-line block ×3, first 2 shown]
	s_sub_u32 s18, s18, s20
	s_subb_u32 s19, s19, s21
	s_lshl_b64 s[18:19], s[18:19], 1
	s_or_b32 s18, s18, 1
	v_cmp_ge_u64_e64 s18, s[18:19], s[26:27]
	v_cndmask_b32_e64 v2, 0, 1, s18
	v_or_b32_e32 v12, s16, v2
.LBB6_594:                              ;   in Loop: Header=BB6_497 Depth=2
	v_lshlrev_b32_e32 v2, 5, v52
	v_sub_nc_u32_e32 v9, v113, v21
	s_mov_b32 s19, exec_lo
	v_sub_nc_u32_e32 v2, v90, v2
	v_ashrrev_i32_e32 v10, 31, v9
	v_ashrrev_i32_e32 v8, 31, v2
	v_lshrrev_b32_e32 v10, 23, v10
	v_lshrrev_b32_e32 v8, 27, v8
	v_add_nc_u32_e32 v10, v9, v10
	v_add_nc_u32_e32 v8, v2, v8
	v_and_b32_e32 v22, 0xfffffe00, v10
	v_ashrrev_i32_e32 v10, 9, v10
	v_and_b32_e32 v11, 0xffffffe0, v8
	v_sub_nc_u32_e32 v24, v9, v22
	v_ashrrev_i32_e32 v8, 5, v8
	v_sub_nc_u32_e32 v23, v2, v11
	v_cmp_lt_i32_e64 s16, 15, v24
	v_lshlrev_b32_e32 v2, 4, v23
	v_add_co_ci_u32_e64 v10, null, 0, v10, s16
	v_lshl_add_u32 v2, v8, 9, v2
	v_sub_nc_u32_e32 v25, v10, v8
	v_sub_nc_u32_e32 v18, v9, v2
	v_cmpx_lt_i32_e32 15, v18
	s_cbranch_execz .LBB6_600
; %bb.595:                              ;   in Loop: Header=BB6_497 Depth=2
	s_trap 2
	ds_read_b64 v[8:9], v0
	v_add_nc_u32_e32 v2, v2, v21
	s_cmp_lt_i32 s88, 0
	s_mov_b32 s23, 0
	s_cselect_b32 s24, -1, 0
	v_ashrrev_i32_e32 v10, 31, v2
	v_add_co_u32 v14, vcc_lo, v2, v116
	v_add_co_ci_u32_e64 v15, null, v10, v117, vcc_lo
	v_add_co_u32 v19, vcc_lo, v2, v118
	v_add_co_ci_u32_e64 v20, null, v10, v119, vcc_lo
	s_waitcnt lgkmcnt(0)
	v_add_co_u32 v16, vcc_lo, v8, v2
	v_add_co_ci_u32_e64 v17, null, v9, v10, vcc_lo
	v_add_co_u32 v26, vcc_lo, v2, v40
	v_add_co_ci_u32_e64 v27, null, v10, v41, vcc_lo
.LBB6_596:                              ;   Parent Loop BB6_47 Depth=1
                                        ;     Parent Loop BB6_497 Depth=2
                                        ; =>    This Loop Header: Depth=3
                                        ;         Child Loop BB6_597 Depth 4
	global_load_dwordx4 v[8:11], v[14:15], off slc
	global_load_dwordx4 v[32:35], v[16:17], off slc
	s_mov_b64 s[20:21], 0
	s_mov_b32 s25, -1
	s_waitcnt vmcnt(0)
	v_add_co_u32 v8, vcc_lo, v32, v8
	v_add_co_ci_u32_e64 v9, null, v33, v9, vcc_lo
	v_sub_co_u32 v2, s17, 0, v8
	v_cmp_gt_i64_e32 vcc_lo, 0, v[8:9]
	v_sub_co_ci_u32_e64 v32, null, 0, v9, s17
	s_and_b32 vcc_lo, s24, vcc_lo
	v_cndmask_b32_e32 v37, v8, v2, vcc_lo
	v_add_co_u32 v8, s17, v34, v10
	v_cndmask_b32_e32 v36, v9, v32, vcc_lo
	v_add_co_ci_u32_e64 v9, null, v35, v11, s17
	v_mul_hi_u32 v2, v37, v12
	v_sub_co_u32 v32, s18, 0, v8
	v_cmp_gt_i64_e64 s17, 0, v[8:9]
	v_mov_b32_e32 v35, v3
	v_mad_u64_u32 v[10:11], null, v36, v12, v[2:3]
	v_sub_co_ci_u32_e64 v2, null, 0, v9, s18
	s_and_b32 s17, s24, s17
	v_cndmask_b32_e64 v39, v8, v32, s17
	v_cndmask_b32_e64 v38, v9, v2, s17
	v_mov_b32_e32 v2, v10
	v_mov_b32_e32 v34, v11
	;; [unrolled: 1-line block ×3, first 2 shown]
	v_mad_u64_u32 v[8:9], null, v37, v13, v[2:3]
	v_mul_hi_u32 v2, v39, v12
	v_mad_u64_u32 v[32:33], null, v38, v12, v[2:3]
	v_mov_b32_e32 v2, v32
	v_mov_b32_e32 v10, v33
	v_mad_u64_u32 v[32:33], null, v36, v13, v[34:35]
	v_mad_u64_u32 v[34:35], null, v39, v13, v[2:3]
	v_mad_u64_u32 v[10:11], null, v38, v13, v[10:11]
	v_add_co_u32 v48, s18, v32, v9
	v_add_co_ci_u32_e64 v49, null, 0, v33, s18
	v_add_co_u32 v35, s18, v10, v35
	v_mad_u64_u32 v[8:9], null, v48, s26, 0
	v_add_co_ci_u32_e64 v50, null, 0, v11, s18
	v_mad_u64_u32 v[10:11], null, v35, s26, 0
	v_mov_b32_e32 v2, v9
	v_sub_co_u32 v8, s18, v37, v8
	v_mov_b32_e32 v9, v11
	v_mad_u64_u32 v[32:33], null, v49, s26, v[2:3]
	v_mad_u64_u32 v[33:34], null, v50, s26, v[9:10]
	v_sub_co_ci_u32_e64 v9, null, v36, v32, s18
	v_sub_co_u32 v10, s18, v39, v10
	v_sub_co_ci_u32_e64 v11, null, v38, v33, s18
	v_cmp_le_u64_e64 s18, s[26:27], v[8:9]
	v_cndmask_b32_e64 v2, 0, 1, s18
	v_cmp_le_u64_e64 s18, s[26:27], v[10:11]
	v_cndmask_b32_e64 v8, 0, 1, s18
	v_add_co_u32 v2, s18, v48, v2
	v_add_co_ci_u32_e64 v9, null, 0, v49, s18
	v_add_co_u32 v10, s18, v35, v8
	v_add_co_ci_u32_e64 v11, null, 0, v50, s18
	v_sub_co_u32 v8, s18, 0, v2
	v_sub_co_ci_u32_e64 v32, null, 0, v9, s18
	v_sub_co_u32 v33, s18, 0, v10
	v_sub_co_ci_u32_e64 v34, null, 0, v11, s18
	v_cndmask_b32_e32 v9, v9, v32, vcc_lo
	v_cndmask_b32_e32 v8, v2, v8, vcc_lo
	v_cndmask_b32_e64 v10, v10, v33, s17
	v_cndmask_b32_e64 v11, v11, v34, s17
	.p2align	6
.LBB6_597:                              ;   Parent Loop BB6_47 Depth=1
                                        ;     Parent Loop BB6_497 Depth=2
                                        ;       Parent Loop BB6_596 Depth=3
                                        ; =>      This Inner Loop Header: Depth=4
	s_cmp_eq_u32 s20, 1
	s_cselect_b32 vcc_lo, -1, 0
	s_cmp_eq_u32 s20, 0
	v_cndmask_b32_e32 v32, v19, v26, vcc_lo
	v_cndmask_b32_e32 v33, v20, v27, vcc_lo
	s_mov_b64 s[20:21], 1
	v_add_co_u32 v2, s17, 0x200, v32
	v_add_co_ci_u32_e64 v34, null, 0, v33, s17
	s_cselect_b32 s17, -1, 0
	v_cndmask_b32_e32 v26, v26, v2, vcc_lo
	v_cndmask_b32_e64 v19, v19, v2, s17
	v_cndmask_b32_e32 v27, v27, v34, vcc_lo
	v_cndmask_b32_e64 v20, v20, v34, s17
	s_and_b32 s18, exec_lo, s25
	s_mov_b32 s25, 0
	s_mov_b32 vcc_lo, s18
	global_store_dwordx4 v[32:33], v[8:11], off glc slc
	s_cbranch_vccnz .LBB6_597
; %bb.598:                              ;   in Loop: Header=BB6_596 Depth=3
	v_add_co_u32 v14, vcc_lo, v14, v122
	v_sub_nc_u32_e32 v18, v18, v104
	v_add_co_ci_u32_e64 v15, null, v15, v123, vcc_lo
	v_add_co_u32 v16, vcc_lo, v16, v122
	v_add_co_ci_u32_e64 v17, null, v17, v123, vcc_lo
	v_add_co_u32 v19, vcc_lo, v19, v109
	v_add_co_ci_u32_e64 v20, null, v20, v120, vcc_lo
	v_cmp_gt_i32_e32 vcc_lo, 16, v18
	v_add_co_u32 v26, s17, v26, v109
	v_add_co_ci_u32_e64 v27, null, v27, v120, s17
	v_sub_nc_u32_e32 v25, v25, v89
	s_or_b32 s23, vcc_lo, s23
	s_andn2_b32 exec_lo, exec_lo, s23
	s_cbranch_execnz .LBB6_596
; %bb.599:                              ;   in Loop: Header=BB6_497 Depth=2
	s_or_b32 exec_lo, exec_lo, s23
.LBB6_600:                              ;   in Loop: Header=BB6_497 Depth=2
	s_or_b32 exec_lo, exec_lo, s19
	v_and_b32_e32 v8, 8, v113
	s_mov_b32 s18, s89
	s_mov_b32 s17, exec_lo
                                        ; implicit-def: $vgpr18
                                        ; implicit-def: $vgpr2
                                        ; implicit-def: $vgpr20
	v_cndmask_b32_e64 v19, v24, v8, s16
	v_cmpx_ne_u32_e32 0, v19
	s_cbranch_execz .LBB6_602
; %bb.601:                              ;   in Loop: Header=BB6_497 Depth=2
	v_cmp_lt_i32_e32 vcc_lo, 0, v25
	v_sub_nc_u32_e32 v8, v24, v8
	s_or_b32 s18, s89, exec_lo
	v_cndmask_b32_e32 v2, 0, v89, vcc_lo
	v_cndmask_b32_e64 v8, 0, v8, s16
	v_sub_nc_u32_e32 v2, v2, v25
	v_add3_u32 v18, v22, v21, v8
	v_lshl_add_u32 v2, v2, 5, v23
	v_ashrrev_i32_e32 v9, 31, v2
	v_lshrrev_b32_e32 v9, 27, v9
	v_add_nc_u32_e32 v9, v2, v9
	v_and_b32_e32 v9, 0xffffffe0, v9
	v_sub_nc_u32_e32 v20, v2, v9
.LBB6_602:                              ;   in Loop: Header=BB6_497 Depth=2
	s_or_b32 exec_lo, exec_lo, s17
	s_andn2_b32 s16, s89, exec_lo
	s_and_b32 s17, s18, exec_lo
	s_or_b32 s89, s16, s17
.LBB6_603:                              ;   in Loop: Header=BB6_497 Depth=2
	s_or_b32 exec_lo, exec_lo, s22
	s_mov_b64 s[22:23], s[26:27]
	s_and_saveexec_b32 s21, s89
	s_cbranch_execz .LBB6_624
.LBB6_604:                              ;   in Loop: Header=BB6_497 Depth=2
	v_mov_b32_e32 v8, -1
	v_mov_b32_e32 v9, -1
	s_cmp_lt_i32 s26, 1
	s_cbranch_scc1 .LBB6_609
; %bb.605:                              ;   in Loop: Header=BB6_497 Depth=2
	s_cmp_lg_u32 s26, 1
	s_cbranch_scc1 .LBB6_607
; %bb.606:                              ;   in Loop: Header=BB6_497 Depth=2
	s_mov_b32 s28, s27
	s_mov_b64 s[18:19], 1
	s_mov_b64 s[16:17], s[28:29]
	s_branch .LBB6_608
.LBB6_607:                              ;   in Loop: Header=BB6_497 Depth=2
	s_mov_b64 s[18:19], 3
	s_mov_b64 s[16:17], 0
.LBB6_608:                              ;   in Loop: Header=BB6_497 Depth=2
	v_cmp_lt_u64_e64 s19, s[18:19], s[22:23]
	s_or_b32 s20, s17, 2.0
	s_and_b32 s19, s19, exec_lo
	s_cselect_b32 s19, 0, s22
	s_cselect_b32 s17, s17, s20
	s_sub_i32 s18, s18, s19
	s_mov_b32 s19, s27
	s_lshl_b32 s18, s18, 1
	s_or_b32 s20, s17, 0x20000000
	s_or_b32 s18, s18, 1
	v_cmp_lt_u64_e64 s19, s[18:19], s[22:23]
	s_and_b32 s19, s19, exec_lo
	s_cselect_b32 s19, 0, s22
	s_cselect_b32 s17, s17, s20
	s_cselect_b32 s20, 0, s23
	s_sub_u32 s18, s18, s19
	s_subb_u32 s19, 0, s20
	s_or_b32 s24, s17, 0x10000000
	s_lshl_b64 s[18:19], s[18:19], 1
	s_or_b32 s18, s18, 1
	v_cmp_lt_u64_e64 s20, s[18:19], s[22:23]
	s_and_b32 s20, s20, exec_lo
	s_cselect_b32 s20, 0, s22
	s_cselect_b32 s17, s17, s24
	s_cselect_b32 s24, 0, s23
	s_sub_u32 s18, s18, s20
	s_subb_u32 s19, s19, s24
	s_or_b32 s24, s17, 0x8000000
	s_lshl_b64 s[18:19], s[18:19], 1
	;; [unrolled: 10-line block ×30, first 2 shown]
	v_mov_b32_e32 v9, s17
	s_or_b32 s18, s18, 1
	v_cmp_lt_u64_e64 s20, s[18:19], s[22:23]
	s_and_b32 s20, s20, exec_lo
	s_cselect_b32 s20, 0, s22
	s_cselect_b32 s16, s16, s24
	s_cselect_b32 s24, 0, s23
	s_sub_u32 s18, s18, s20
	s_subb_u32 s19, s19, s24
	s_or_b32 s24, s16, 2.0
	s_lshl_b64 s[18:19], s[18:19], 1
	s_or_b32 s18, s18, 1
	v_cmp_lt_u64_e64 s20, s[18:19], s[22:23]
	s_and_b32 s20, s20, exec_lo
	s_cselect_b32 s20, 0, s22
	s_cselect_b32 s16, s16, s24
	s_cselect_b32 s24, 0, s23
	s_sub_u32 s18, s18, s20
	s_subb_u32 s19, s19, s24
	s_or_b32 s24, s16, 0x20000000
	s_lshl_b64 s[18:19], s[18:19], 1
	s_or_b32 s18, s18, 1
	v_cmp_lt_u64_e64 s20, s[18:19], s[22:23]
	s_and_b32 s20, s20, exec_lo
	s_cselect_b32 s20, 0, s22
	s_cselect_b32 s16, s16, s24
	s_cselect_b32 s24, 0, s23
	s_sub_u32 s18, s18, s20
	s_subb_u32 s19, s19, s24
	s_or_b32 s24, s16, 0x10000000
	;; [unrolled: 10-line block ×29, first 2 shown]
	s_lshl_b64 s[18:19], s[18:19], 1
	s_or_b32 s18, s18, 1
	v_cmp_lt_u64_e64 s20, s[18:19], s[22:23]
	s_and_b32 s20, s20, exec_lo
	s_cselect_b32 s20, 0, s22
	s_cselect_b32 s16, s16, s24
	;; [unrolled: 1-line block ×3, first 2 shown]
	s_sub_u32 s18, s18, s20
	s_subb_u32 s19, s19, s24
	s_lshl_b64 s[18:19], s[18:19], 1
	s_or_b32 s18, s18, 1
	v_cmp_ge_u64_e64 s18, s[18:19], s[22:23]
	v_cndmask_b32_e64 v8, 0, 1, s18
	v_or_b32_e32 v8, s16, v8
.LBB6_609:                              ;   in Loop: Header=BB6_497 Depth=2
	v_ashrrev_i32_e32 v10, 31, v2
	v_ashrrev_i32_e32 v11, 31, v19
	s_mov_b32 s24, exec_lo
	v_lshrrev_b32_e32 v10, 27, v10
	v_lshrrev_b32_e32 v11, 22, v11
	v_add_nc_u32_e32 v2, v2, v10
	v_add_nc_u32_e32 v10, v19, v11
	v_ashrrev_i32_e32 v2, 5, v2
	v_ashrrev_i32_e32 v22, 10, v10
	v_sub_nc_u32_e32 v21, v22, v2
	v_cmpx_lt_i32_e32 0, v21
	s_cbranch_execz .LBB6_613
; %bb.610:                              ;   in Loop: Header=BB6_497 Depth=2
	s_trap 2
	ds_read_b64 v[14:15], v0
	v_lshlrev_b32_e32 v2, 10, v2
	v_lshlrev_b32_e32 v10, 3, v20
	s_cmp_lt_i32 s88, 0
	s_mov_b32 s25, 0
	s_cselect_b32 s28, -1, 0
	v_add3_u32 v2, v18, v10, v2
	v_ashrrev_i32_e32 v17, 31, v2
	v_add_co_u32 v10, vcc_lo, v2, v116
	v_add_co_ci_u32_e64 v11, null, v17, v117, vcc_lo
	v_add_co_u32 v12, vcc_lo, v2, v118
	v_add_co_ci_u32_e64 v13, null, v17, v119, vcc_lo
	s_waitcnt lgkmcnt(0)
	v_add_co_u32 v14, vcc_lo, v14, v2
	v_add_co_ci_u32_e64 v15, null, v15, v17, vcc_lo
	v_add_co_u32 v16, vcc_lo, v2, v40
	v_add_co_ci_u32_e64 v17, null, v17, v41, vcc_lo
.LBB6_611:                              ;   Parent Loop BB6_47 Depth=1
                                        ;     Parent Loop BB6_497 Depth=2
                                        ; =>    This Inner Loop Header: Depth=3
	flat_load_dwordx2 v[23:24], v[14:15] slc
	s_clause 0x1
	flat_load_dwordx2 v[25:26], v[10:11] slc
	flat_load_dwordx2 v[32:33], v[10:11] offset:256 slc
	s_clause 0x1
	flat_load_dwordx2 v[34:35], v[14:15] offset:256 slc
	flat_load_dwordx2 v[36:37], v[14:15] offset:512 slc
	s_clause 0x1
	flat_load_dwordx2 v[38:39], v[10:11] offset:512 slc
	flat_load_dwordx2 v[48:49], v[10:11] offset:768 slc
	;; [unrolled: 1-line block ×3, first 2 shown]
	v_mov_b32_e32 v27, v3
	v_mov_b32_e32 v52, v3
	;; [unrolled: 1-line block ×4, first 2 shown]
	v_sub_nc_u32_e32 v21, v21, v89
	v_add_co_u32 v10, vcc_lo, v10, v105
	v_add_co_ci_u32_e64 v11, null, 0, v11, vcc_lo
	v_add_co_u32 v14, vcc_lo, v14, v105
	v_add_co_ci_u32_e64 v15, null, 0, v15, vcc_lo
	v_cmp_gt_i32_e32 vcc_lo, 1, v21
	s_waitcnt vmcnt(6) lgkmcnt(6)
	v_add_co_u32 v23, s16, v23, v25
	v_add_co_ci_u32_e64 v24, null, v24, v26, s16
	s_waitcnt vmcnt(4) lgkmcnt(4)
	v_add_co_u32 v25, s16, v34, v32
	v_add_co_ci_u32_e64 v26, null, v35, v33, s16
	;; [unrolled: 3-line block ×4, first 2 shown]
	v_sub_co_u32 v39, s19, 0, v32
	v_cmp_gt_i64_e64 s16, 0, v[23:24]
	v_sub_co_ci_u32_e64 v48, null, 0, v33, s19
	v_cmp_gt_i64_e64 s19, 0, v[34:35]
	v_sub_co_u32 v49, s20, 0, v34
	v_sub_co_u32 v2, s17, 0, v23
	v_sub_co_ci_u32_e64 v50, null, 0, v35, s20
	s_and_b32 s16, s28, s16
	s_and_b32 s19, s28, s19
	v_sub_co_ci_u32_e64 v36, null, 0, v24, s17
	v_cndmask_b32_e64 v50, v35, v50, s19
	v_cndmask_b32_e64 v35, v23, v2, s16
	v_cmp_gt_i64_e64 s17, 0, v[25:26]
	v_cndmask_b32_e64 v36, v24, v36, s16
	v_sub_co_u32 v37, s18, 0, v25
	v_mul_hi_u32 v2, v35, v8
	v_sub_co_ci_u32_e64 v38, null, 0, v26, s18
	s_and_b32 s17, s28, s17
	v_cndmask_b32_e64 v49, v34, v49, s19
	v_cndmask_b32_e64 v37, v25, v37, s17
	;; [unrolled: 1-line block ×3, first 2 shown]
	v_cmp_gt_i64_e64 s18, 0, v[32:33]
	v_mad_u64_u32 v[23:24], null, v36, v8, v[2:3]
	s_and_b32 s18, s28, s18
	s_or_b32 s25, vcc_lo, s25
	v_cndmask_b32_e64 v48, v33, v48, s18
	v_mov_b32_e32 v2, v23
	v_mov_b32_e32 v26, v24
	v_cndmask_b32_e64 v39, v32, v39, s18
	v_mad_u64_u32 v[23:24], null, v35, v9, v[2:3]
	v_mad_u64_u32 v[25:26], null, v36, v9, v[26:27]
	v_mul_hi_u32 v2, v37, v8
	v_add_co_u32 v27, s20, v25, v24
	v_mad_u64_u32 v[23:24], null, v38, v8, v[2:3]
	v_add_co_ci_u32_e64 v34, null, 0, v26, s20
	v_mul_lo_u32 v44, v27, s23
	v_mad_u64_u32 v[25:26], null, v27, s22, 0
	v_mul_lo_u32 v42, v34, s22
	v_mov_b32_e32 v2, v23
	v_mov_b32_e32 v51, v24
	v_mad_u64_u32 v[23:24], null, v37, v9, v[2:3]
	v_mad_u64_u32 v[32:33], null, v38, v9, v[51:52]
	v_add3_u32 v23, v26, v44, v42
	v_sub_co_u32 v25, s20, v35, v25
	v_mul_hi_u32 v2, v39, v8
	v_sub_co_ci_u32_e64 v26, null, v36, v23, s20
	v_add_co_u32 v36, s20, v32, v24
	v_add_co_ci_u32_e64 v51, null, 0, v33, s20
	v_cmp_le_u64_e64 s20, s[22:23], v[25:26]
	v_mad_u64_u32 v[23:24], null, v48, v8, v[2:3]
	v_mul_lo_u32 v32, v51, s22
	v_mul_lo_u32 v33, v36, s23
	v_mad_u64_u32 v[25:26], null, v36, s22, 0
	v_cndmask_b32_e64 v2, 0, 1, s20
	v_mov_b32_e32 v52, v24
	v_add_co_u32 v42, s20, v27, v2
	v_mov_b32_e32 v2, v23
	v_add_co_ci_u32_e64 v34, null, 0, v34, s20
	v_add3_u32 v33, v26, v33, v32
	v_mad_u64_u32 v[26:27], null, v48, v9, v[52:53]
	v_mad_u64_u32 v[23:24], null, v39, v9, v[2:3]
	v_sub_co_u32 v44, s20, 0, v42
	v_sub_co_ci_u32_e64 v35, null, 0, v34, s20
	v_sub_co_u32 v32, s20, v37, v25
	v_sub_co_ci_u32_e64 v33, null, v38, v33, s20
	v_mul_hi_u32 v2, v49, v8
	v_cndmask_b32_e64 v35, v34, v35, s16
	v_cndmask_b32_e64 v34, v42, v44, s16
	v_add_co_u32 v38, s16, v26, v24
	v_add_co_ci_u32_e64 v52, null, 0, v27, s16
	v_cmp_le_u64_e64 s16, s[22:23], v[32:33]
	v_mad_u64_u32 v[23:24], null, v50, v8, v[2:3]
	v_mul_lo_u32 v27, v52, s22
	v_mul_lo_u32 v32, v38, s23
	v_mad_u64_u32 v[25:26], null, v38, s22, 0
	v_cndmask_b32_e64 v2, 0, 1, s16
	flat_store_dwordx2 v[12:13], v[34:35] glc slc
	v_mov_b32_e32 v42, v24
	v_add_co_u32 v33, s16, v36, v2
	v_add_co_ci_u32_e64 v36, null, 0, v51, s16
	v_mov_b32_e32 v2, v23
	v_sub_co_u32 v51, s16, 0, v33
	v_sub_co_ci_u32_e64 v37, null, 0, v36, s16
	v_add3_u32 v53, v26, v32, v27
	v_mad_u64_u32 v[23:24], null, v49, v9, v[2:3]
	v_mad_u64_u32 v[26:27], null, v50, v9, v[42:43]
	v_sub_co_u32 v32, s16, v39, v25
	v_cndmask_b32_e64 v37, v36, v37, s17
	v_cndmask_b32_e64 v36, v33, v51, s17
	v_sub_co_ci_u32_e64 v33, null, v48, v53, s16
	v_add_co_u32 v2, s16, v26, v24
	v_add_co_ci_u32_e64 v27, null, 0, v27, s16
	v_cmp_le_u64_e64 s16, s[22:23], v[32:33]
	v_mul_lo_u32 v32, v2, s23
	v_mad_u64_u32 v[23:24], null, v2, s22, 0
	v_mul_lo_u32 v26, v27, s22
	flat_store_dwordx2 v[12:13], v[36:37] offset:256 glc slc
	v_cndmask_b32_e64 v25, 0, 1, s16
	v_add_co_u32 v25, s16, v38, v25
	v_add_co_ci_u32_e64 v33, null, 0, v52, s16
	v_add3_u32 v24, v24, v32, v26
	v_sub_co_u32 v38, s16, 0, v25
	v_sub_co_ci_u32_e64 v39, null, 0, v33, s16
	v_sub_co_u32 v23, s16, v49, v23
	v_sub_co_ci_u32_e64 v24, null, v50, v24, s16
	v_cndmask_b32_e64 v26, v33, v39, s18
	v_cndmask_b32_e64 v25, v25, v38, s18
	v_cmp_le_u64_e64 s16, s[22:23], v[23:24]
	flat_store_dwordx2 v[12:13], v[25:26] offset:512 glc slc
	v_cndmask_b32_e64 v23, 0, 1, s16
	v_add_co_u32 v2, s16, v2, v23
	v_add_co_ci_u32_e64 v23, null, 0, v27, s16
	v_sub_co_u32 v27, s16, 0, v2
	v_sub_co_ci_u32_e64 v24, null, 0, v23, s16
	v_cndmask_b32_e64 v24, v23, v24, s19
	v_cndmask_b32_e64 v23, v2, v27, s19
	flat_store_dwordx2 v[12:13], v[23:24] offset:768 glc slc
	flat_store_dwordx2 v[16:17], v[34:35] glc slc
	flat_store_dwordx2 v[16:17], v[36:37] offset:256 glc slc
	flat_store_dwordx2 v[16:17], v[25:26] offset:512 glc slc
	flat_store_dwordx2 v[16:17], v[23:24] offset:768 glc slc
	v_add_co_u32 v12, s16, v12, v105
	v_add_co_ci_u32_e64 v13, null, 0, v13, s16
	v_add_co_u32 v16, s16, v16, v105
	v_add_co_ci_u32_e64 v17, null, 0, v17, s16
	s_andn2_b32 exec_lo, exec_lo, s25
	s_cbranch_execnz .LBB6_611
; %bb.612:                              ;   in Loop: Header=BB6_497 Depth=2
	s_or_b32 exec_lo, exec_lo, s25
.LBB6_613:                              ;   in Loop: Header=BB6_497 Depth=2
	s_or_b32 exec_lo, exec_lo, s24
	v_lshlrev_b32_e32 v2, 10, v22
	v_cmp_ne_u32_e32 vcc_lo, v19, v2
	s_and_b32 exec_lo, exec_lo, vcc_lo
	s_cbranch_execz .LBB6_624
; %bb.614:                              ;   in Loop: Header=BB6_497 Depth=2
	v_mov_b32_e32 v8, -1
	v_mov_b32_e32 v9, -1
	s_cmp_lt_i32 s26, 1
	s_cbranch_scc1 .LBB6_619
; %bb.615:                              ;   in Loop: Header=BB6_497 Depth=2
	s_cmp_lg_u32 s26, 1
	s_cbranch_scc1 .LBB6_617
; %bb.616:                              ;   in Loop: Header=BB6_497 Depth=2
	s_mov_b32 s28, s27
	s_mov_b64 s[18:19], 1
	s_mov_b64 s[16:17], s[28:29]
	s_branch .LBB6_618
.LBB6_617:                              ;   in Loop: Header=BB6_497 Depth=2
	s_mov_b64 s[18:19], 3
	s_mov_b64 s[16:17], 0
.LBB6_618:                              ;   in Loop: Header=BB6_497 Depth=2
	v_cmp_lt_u64_e64 s19, s[18:19], s[22:23]
	s_or_b32 s20, s17, 2.0
	s_and_b32 s19, s19, exec_lo
	s_cselect_b32 s19, 0, s22
	s_cselect_b32 s17, s17, s20
	s_sub_i32 s18, s18, s19
	s_or_b32 s19, s17, 0x20000000
	s_lshl_b32 s18, s18, 1
	s_or_b32 s26, s18, 1
	v_cmp_lt_u64_e64 s18, s[26:27], s[22:23]
	s_and_b32 s18, s18, exec_lo
	s_cselect_b32 s18, 0, s22
	s_cselect_b32 s17, s17, s19
	s_cselect_b32 s19, 0, s23
	s_sub_u32 s18, s26, s18
	s_subb_u32 s19, 0, s19
	s_or_b32 s24, s17, 0x10000000
	s_lshl_b64 s[18:19], s[18:19], 1
	s_or_b32 s18, s18, 1
	v_cmp_lt_u64_e64 s20, s[18:19], s[22:23]
	s_and_b32 s20, s20, exec_lo
	s_cselect_b32 s20, 0, s22
	s_cselect_b32 s17, s17, s24
	s_cselect_b32 s24, 0, s23
	s_sub_u32 s18, s18, s20
	s_subb_u32 s19, s19, s24
	s_or_b32 s24, s17, 0x8000000
	s_lshl_b64 s[18:19], s[18:19], 1
	;; [unrolled: 10-line block ×30, first 2 shown]
	v_mov_b32_e32 v9, s17
	s_or_b32 s18, s18, 1
	v_cmp_lt_u64_e64 s20, s[18:19], s[22:23]
	s_and_b32 s20, s20, exec_lo
	s_cselect_b32 s20, 0, s22
	s_cselect_b32 s16, s16, s24
	;; [unrolled: 1-line block ×3, first 2 shown]
	s_sub_u32 s18, s18, s20
	s_subb_u32 s19, s19, s24
	s_or_b32 s24, s16, 2.0
	s_lshl_b64 s[18:19], s[18:19], 1
	s_or_b32 s18, s18, 1
	v_cmp_lt_u64_e64 s20, s[18:19], s[22:23]
	s_and_b32 s20, s20, exec_lo
	s_cselect_b32 s20, 0, s22
	s_cselect_b32 s16, s16, s24
	s_cselect_b32 s24, 0, s23
	s_sub_u32 s18, s18, s20
	s_subb_u32 s19, s19, s24
	s_or_b32 s24, s16, 0x20000000
	s_lshl_b64 s[18:19], s[18:19], 1
	s_or_b32 s18, s18, 1
	v_cmp_lt_u64_e64 s20, s[18:19], s[22:23]
	s_and_b32 s20, s20, exec_lo
	s_cselect_b32 s20, 0, s22
	s_cselect_b32 s16, s16, s24
	s_cselect_b32 s24, 0, s23
	s_sub_u32 s18, s18, s20
	s_subb_u32 s19, s19, s24
	s_or_b32 s24, s16, 0x10000000
	;; [unrolled: 10-line block ×29, first 2 shown]
	s_lshl_b64 s[18:19], s[18:19], 1
	s_or_b32 s18, s18, 1
	v_cmp_lt_u64_e64 s20, s[18:19], s[22:23]
	s_and_b32 s20, s20, exec_lo
	s_cselect_b32 s20, 0, s22
	s_cselect_b32 s16, s16, s24
	;; [unrolled: 1-line block ×3, first 2 shown]
	s_sub_u32 s18, s18, s20
	s_subb_u32 s19, s19, s24
	s_lshl_b64 s[18:19], s[18:19], 1
	s_or_b32 s18, s18, 1
	v_cmp_ge_u64_e64 s18, s[18:19], s[22:23]
	v_cndmask_b32_e64 v8, 0, 1, s18
	v_or_b32_e32 v8, s16, v8
.LBB6_619:                              ;   in Loop: Header=BB6_497 Depth=2
	v_lshlrev_b32_e32 v10, 5, v21
	v_sub_nc_u32_e32 v10, v20, v10
	v_ashrrev_i32_e32 v11, 31, v10
	v_lshrrev_b32_e32 v11, 27, v11
	v_add_nc_u32_e32 v11, v10, v11
	v_and_b32_e32 v12, 0x1fffffe0, v11
	v_lshlrev_b32_e32 v11, 3, v11
	v_sub_nc_u32_e32 v10, v10, v12
	v_and_b32_e32 v11, 0xffffff00, v11
	v_lshl_add_u32 v10, v10, 3, v11
	v_add_nc_u32_e32 v11, v2, v10
	v_sub_nc_u32_e32 v16, v19, v11
	v_cmp_lt_i32_e32 vcc_lo, 7, v16
	s_and_b32 exec_lo, exec_lo, vcc_lo
	s_cbranch_execz .LBB6_624
; %bb.620:                              ;   in Loop: Header=BB6_497 Depth=2
	s_trap 2
	ds_read_b64 v[12:13], v0
	v_add3_u32 v2, v2, v18, v10
	s_cmp_lt_i32 s88, 0
	s_mov_b32 s20, 0
	s_cselect_b32 s24, -1, 0
	v_ashrrev_i32_e32 v14, 31, v2
	v_add_co_u32 v10, vcc_lo, v2, v116
	v_add_co_ci_u32_e64 v11, null, v14, v117, vcc_lo
	v_add_co_u32 v17, vcc_lo, v2, v118
	v_add_co_ci_u32_e64 v18, null, v14, v119, vcc_lo
	s_waitcnt lgkmcnt(0)
	v_add_co_u32 v12, vcc_lo, v12, v2
	v_add_co_ci_u32_e64 v13, null, v13, v14, vcc_lo
	v_add_co_u32 v19, vcc_lo, v2, v40
	v_add_co_ci_u32_e64 v20, null, v14, v41, vcc_lo
.LBB6_621:                              ;   Parent Loop BB6_47 Depth=1
                                        ;     Parent Loop BB6_497 Depth=2
                                        ; =>    This Loop Header: Depth=3
                                        ;         Child Loop BB6_622 Depth 4
	flat_load_dwordx2 v[14:15], v[10:11] slc
	flat_load_dwordx2 v[21:22], v[12:13] slc
	s_mov_b64 s[18:19], 0
	s_mov_b32 s25, -1
	s_waitcnt vmcnt(0) lgkmcnt(0)
	v_add_co_u32 v14, vcc_lo, v21, v14
	v_add_co_ci_u32_e64 v15, null, v22, v15, vcc_lo
	v_mov_b32_e32 v22, v3
	v_sub_co_u32 v2, s16, 0, v14
	v_cmp_gt_i64_e32 vcc_lo, 0, v[14:15]
	v_sub_co_ci_u32_e64 v21, null, 0, v15, s16
	s_and_b32 vcc_lo, s24, vcc_lo
	v_cndmask_b32_e32 v24, v14, v2, vcc_lo
	v_cndmask_b32_e32 v23, v15, v21, vcc_lo
	v_mul_hi_u32 v2, v24, v8
	v_mad_u64_u32 v[14:15], null, v23, v8, v[2:3]
	v_mov_b32_e32 v2, v14
	v_mov_b32_e32 v21, v15
	v_mad_u64_u32 v[14:15], null, v24, v9, v[2:3]
	v_mad_u64_u32 v[21:22], null, v23, v9, v[21:22]
	v_add_co_u32 v2, s16, v21, v15
	v_add_co_ci_u32_e64 v21, null, 0, v22, s16
	v_mul_lo_u32 v25, v2, s23
	v_mad_u64_u32 v[14:15], null, v2, s22, 0
	v_mul_lo_u32 v22, v21, s22
	v_sub_co_u32 v14, s16, v24, v14
	v_add3_u32 v15, v15, v25, v22
	v_sub_co_ci_u32_e64 v15, null, v23, v15, s16
	v_cmp_le_u64_e64 s16, s[22:23], v[14:15]
	v_cndmask_b32_e64 v14, 0, 1, s16
	v_add_co_u32 v2, s16, v2, v14
	v_add_co_ci_u32_e64 v14, null, 0, v21, s16
	v_sub_co_u32 v21, s16, 0, v2
	v_sub_co_ci_u32_e64 v15, null, 0, v14, s16
	v_cndmask_b32_e32 v15, v14, v15, vcc_lo
	v_cndmask_b32_e32 v14, v2, v21, vcc_lo
	.p2align	6
.LBB6_622:                              ;   Parent Loop BB6_47 Depth=1
                                        ;     Parent Loop BB6_497 Depth=2
                                        ;       Parent Loop BB6_621 Depth=3
                                        ; =>      This Inner Loop Header: Depth=4
	s_cmp_eq_u32 s18, 1
	s_cselect_b32 vcc_lo, -1, 0
	s_cmp_eq_u32 s18, 0
	v_cndmask_b32_e32 v21, v17, v19, vcc_lo
	v_cndmask_b32_e32 v22, v18, v20, vcc_lo
	s_mov_b64 s[18:19], 1
	v_add_co_u32 v2, s16, 0x100, v21
	v_add_co_ci_u32_e64 v23, null, 0, v22, s16
	s_cselect_b32 s16, -1, 0
	v_cndmask_b32_e32 v19, v19, v2, vcc_lo
	v_cndmask_b32_e64 v17, v17, v2, s16
	v_cndmask_b32_e32 v20, v20, v23, vcc_lo
	v_cndmask_b32_e64 v18, v18, v23, s16
	s_and_b32 s17, exec_lo, s25
	s_mov_b32 s25, 0
	s_mov_b32 vcc_lo, s17
	flat_store_dwordx2 v[21:22], v[14:15] glc slc
	s_cbranch_vccnz .LBB6_622
; %bb.623:                              ;   in Loop: Header=BB6_621 Depth=3
	v_add_co_u32 v10, vcc_lo, v10, v124
	v_sub_nc_u32_e32 v16, v16, v106
	v_add_co_ci_u32_e64 v11, null, v11, v125, vcc_lo
	v_add_co_u32 v12, vcc_lo, v12, v124
	v_add_co_ci_u32_e64 v13, null, v13, v125, vcc_lo
	v_add_co_u32 v17, vcc_lo, v17, v110
	v_add_co_ci_u32_e64 v18, null, v18, v121, vcc_lo
	v_cmp_gt_i32_e32 vcc_lo, 8, v16
	v_add_co_u32 v19, s16, v19, v110
	v_add_co_ci_u32_e64 v20, null, v20, v121, s16
	s_or_b32 s20, vcc_lo, s20
	s_andn2_b32 exec_lo, exec_lo, s20
	s_cbranch_execnz .LBB6_621
.LBB6_624:                              ;   in Loop: Header=BB6_497 Depth=2
	s_or_b32 exec_lo, exec_lo, s21
	s_mov_b32 s16, 0
.LBB6_625:                              ;   in Loop: Header=BB6_497 Depth=2
	s_and_b32 vcc_lo, exec_lo, s16
	s_cbranch_vccz .LBB6_635
; %bb.626:                              ;   in Loop: Header=BB6_497 Depth=2
	s_mov_b32 s16, -1
	s_and_saveexec_b32 s17, s14
	s_cbranch_execz .LBB6_628
; %bb.627:                              ;   in Loop: Header=BB6_497 Depth=2
	ds_read_b32 v2, v0 offset:720
	s_waitcnt lgkmcnt(0)
	v_and_b32_e32 v2, 15, v2
	v_cmp_eq_u32_e32 vcc_lo, 0, v2
	s_orn2_b32 s16, vcc_lo, exec_lo
.LBB6_628:                              ;   in Loop: Header=BB6_497 Depth=2
	s_or_b32 exec_lo, exec_lo, s17
	s_and_saveexec_b32 s17, s12
	s_cbranch_execz .LBB6_630
; %bb.629:                              ;   in Loop: Header=BB6_497 Depth=2
	ds_read_b32 v2, v0 offset:784
	s_waitcnt lgkmcnt(0)
	v_and_b32_e32 v2, 15, v2
	v_cmp_eq_u32_e32 vcc_lo, 0, v2
	s_and_b32 s18, s16, vcc_lo
	s_andn2_b32 s16, s16, exec_lo
	s_and_b32 s18, s18, exec_lo
	s_or_b32 s16, s16, s18
.LBB6_630:                              ;   in Loop: Header=BB6_497 Depth=2
	s_or_b32 exec_lo, exec_lo, s17
	s_xor_b32 s16, s16, -1
	v_cndmask_b32_e64 v2, 0, 1, s16
	s_mov_b32 s16, -1
	v_cmp_ne_u32_e32 vcc_lo, 0, v2
	v_alignbit_b32 v2, v40, v40, 1
	s_cbranch_vccz .LBB6_636
; %bb.631:                              ;   in Loop: Header=BB6_497 Depth=2
	v_readfirstlane_b32 s16, v2
	v_readfirstlane_b32 s88, v2
	s_mov_b32 s89, -1
	s_and_b32 s26, s16, 0x7fffffff
	s_mov_b64 s[22:23], s[26:27]
	v_mov_b32_e32 v16, 0
	s_cbranch_execnz .LBB6_637
.LBB6_632:                              ;   in Loop: Header=BB6_497 Depth=2
	v_readfirstlane_b32 s16, v2
	v_mov_b32_e32 v40, -1
	v_readfirstlane_b32 s88, v2
	v_mov_b32_e32 v41, -1
	s_and_b32 s26, s16, 0x7fffffff
	s_cmp_lt_i32 s26, 1
	s_cbranch_scc1 .LBB6_640
; %bb.633:                              ;   in Loop: Header=BB6_497 Depth=2
	s_cmp_lg_u32 s26, 1
	s_cbranch_scc1 .LBB6_638
; %bb.634:                              ;   in Loop: Header=BB6_497 Depth=2
	s_mov_b32 s28, s27
	s_mov_b64 s[18:19], 1
	s_mov_b64 s[16:17], s[28:29]
	s_branch .LBB6_639
.LBB6_635:                              ;   in Loop: Header=BB6_497 Depth=2
	v_cmp_lt_i32_e64 s16, 0, v103
	s_and_saveexec_b32 s17, s6
	s_cbranch_execnz .LBB6_677
	s_branch .LBB6_576
.LBB6_636:                              ;   in Loop: Header=BB6_497 Depth=2
	s_mov_b32 s89, 0
                                        ; implicit-def: $sgpr88
                                        ; implicit-def: $sgpr22_sgpr23
	v_mov_b32_e32 v16, 0
	s_andn2_b32 vcc_lo, exec_lo, s16
	s_cbranch_vccz .LBB6_632
.LBB6_637:                              ;   in Loop: Header=BB6_497 Depth=2
	v_mov_b32_e32 v2, v0
	v_mov_b32_e32 v17, v90
	s_and_saveexec_b32 s21, s89
	s_cbranch_execnz .LBB6_658
	s_branch .LBB6_676
.LBB6_638:                              ;   in Loop: Header=BB6_497 Depth=2
	s_mov_b64 s[18:19], 3
	s_mov_b64 s[16:17], 0
.LBB6_639:                              ;   in Loop: Header=BB6_497 Depth=2
	v_cmp_lt_u64_e64 s19, s[18:19], s[26:27]
	s_or_b32 s20, s17, 2.0
	s_and_b32 s19, s19, exec_lo
	s_cselect_b32 s19, 0, s26
	s_cselect_b32 s17, s17, s20
	s_sub_i32 s18, s18, s19
	s_mov_b32 s19, s27
	s_lshl_b32 s18, s18, 1
	s_or_b32 s20, s17, 0x20000000
	s_or_b32 s18, s18, 1
	v_cmp_lt_u64_e64 s19, s[18:19], s[26:27]
	s_and_b32 s19, s19, exec_lo
	s_cselect_b32 s19, 0, s26
	s_cselect_b32 s17, s17, s20
	s_cselect_b32 s20, 0, 0
	s_sub_u32 s18, s18, s19
	s_subb_u32 s19, 0, s20
	s_or_b32 s21, s17, 0x10000000
	s_lshl_b64 s[18:19], s[18:19], 1
	s_or_b32 s18, s18, 1
	v_cmp_lt_u64_e64 s20, s[18:19], s[26:27]
	s_and_b32 s20, s20, exec_lo
	s_cselect_b32 s20, 0, s26
	s_cselect_b32 s17, s17, s21
	s_cselect_b32 s21, 0, 0
	s_sub_u32 s18, s18, s20
	s_subb_u32 s19, s19, s21
	s_or_b32 s21, s17, 0x8000000
	s_lshl_b64 s[18:19], s[18:19], 1
	;; [unrolled: 10-line block ×30, first 2 shown]
	v_mov_b32_e32 v41, s17
	s_or_b32 s18, s18, 1
	v_cmp_lt_u64_e64 s20, s[18:19], s[26:27]
	s_and_b32 s20, s20, exec_lo
	s_cselect_b32 s20, 0, s26
	s_cselect_b32 s16, s16, s21
	;; [unrolled: 1-line block ×3, first 2 shown]
	s_sub_u32 s18, s18, s20
	s_subb_u32 s19, s19, s21
	s_or_b32 s21, s16, 2.0
	s_lshl_b64 s[18:19], s[18:19], 1
	s_or_b32 s18, s18, 1
	v_cmp_lt_u64_e64 s20, s[18:19], s[26:27]
	s_and_b32 s20, s20, exec_lo
	s_cselect_b32 s20, 0, s26
	s_cselect_b32 s16, s16, s21
	s_cselect_b32 s21, 0, 0
	s_sub_u32 s18, s18, s20
	s_subb_u32 s19, s19, s21
	s_or_b32 s21, s16, 0x20000000
	s_lshl_b64 s[18:19], s[18:19], 1
	s_or_b32 s18, s18, 1
	v_cmp_lt_u64_e64 s20, s[18:19], s[26:27]
	s_and_b32 s20, s20, exec_lo
	s_cselect_b32 s20, 0, s26
	s_cselect_b32 s16, s16, s21
	s_cselect_b32 s21, 0, 0
	s_sub_u32 s18, s18, s20
	s_subb_u32 s19, s19, s21
	s_or_b32 s21, s16, 0x10000000
	;; [unrolled: 10-line block ×29, first 2 shown]
	s_lshl_b64 s[18:19], s[18:19], 1
	s_or_b32 s18, s18, 1
	v_cmp_lt_u64_e64 s20, s[18:19], s[26:27]
	s_and_b32 s20, s20, exec_lo
	s_cselect_b32 s20, 0, s26
	s_cselect_b32 s16, s16, s21
	;; [unrolled: 1-line block ×3, first 2 shown]
	s_sub_u32 s18, s18, s20
	s_subb_u32 s19, s19, s21
	s_lshl_b64 s[18:19], s[18:19], 1
	s_or_b32 s18, s18, 1
	v_cmp_ge_u64_e64 s18, s[18:19], s[26:27]
	v_cndmask_b32_e64 v2, 0, 1, s18
	v_or_b32_e32 v40, s16, v2
.LBB6_640:                              ;   in Loop: Header=BB6_497 Depth=2
	v_ashrrev_i32_e32 v2, 31, v113
	s_mov_b32 s28, exec_lo
	v_lshrrev_b32_e32 v2, 21, v2
	v_add_nc_u32_e32 v2, v113, v2
	v_ashrrev_i32_e32 v53, 11, v2
	v_sub_nc_u32_e32 v52, v53, v91
	v_cmpx_lt_i32_e32 0, v52
	s_cbranch_execz .LBB6_644
; %bb.641:                              ;   in Loop: Header=BB6_497 Depth=2
	s_trap 2
	ds_read_b64 v[8:9], v0
	v_add_co_u32 v42, vcc_lo, v116, v108
	v_add_co_ci_u32_e64 v43, null, 0, v117, vcc_lo
	s_cmp_lt_i32 s88, 0
	s_mov_b32 s90, 0
	s_cselect_b32 s91, -1, 0
	s_waitcnt lgkmcnt(0)
	v_add_co_u32 v44, vcc_lo, v8, v108
	v_add_co_ci_u32_e64 v45, null, 0, v9, vcc_lo
	v_add_co_u32 v46, vcc_lo, v118, v108
	v_add_co_ci_u32_e64 v47, null, 0, v119, vcc_lo
.LBB6_642:                              ;   Parent Loop BB6_47 Depth=1
                                        ;     Parent Loop BB6_497 Depth=2
                                        ; =>    This Inner Loop Header: Depth=3
	global_load_dwordx4 v[36:39], v[44:45], off slc
	s_clause 0x1
	global_load_dwordx4 v[48:51], v[42:43], off slc
	global_load_dwordx4 v[24:27], v[42:43], off offset:512 slc
	s_clause 0x1
	global_load_dwordx4 v[32:35], v[44:45], off offset:512 slc
	global_load_dwordx4 v[16:19], v[44:45], off offset:1024 slc
	s_clause 0x1
	global_load_dwordx4 v[20:23], v[42:43], off offset:1024 slc
	global_load_dwordx4 v[8:11], v[42:43], off offset:1536 slc
	;; [unrolled: 1-line block ×3, first 2 shown]
	v_mov_b32_e32 v57, v3
	v_mov_b32_e32 v58, v3
	;; [unrolled: 1-line block ×8, first 2 shown]
	v_sub_nc_u32_e32 v52, v52, v89
	v_add_co_u32 v42, vcc_lo, v42, v107
	v_add_co_ci_u32_e64 v43, null, 0, v43, vcc_lo
	v_add_co_u32 v44, vcc_lo, v44, v107
	v_add_co_ci_u32_e64 v45, null, 0, v45, vcc_lo
	v_cmp_gt_i32_e32 vcc_lo, 1, v52
	s_waitcnt vmcnt(6)
	v_add_co_u32 v36, s16, v36, v48
	v_add_co_ci_u32_e64 v37, null, v37, v49, s16
	v_add_co_u32 v38, s16, v38, v50
	v_add_co_ci_u32_e64 v39, null, v39, v51, s16
	s_waitcnt vmcnt(4)
	v_add_co_u32 v24, s16, v32, v24
	v_add_co_ci_u32_e64 v25, null, v33, v25, s16
	v_add_co_u32 v26, s16, v34, v26
	v_add_co_ci_u32_e64 v27, null, v35, v27, s16
	;; [unrolled: 5-line block ×3, first 2 shown]
	s_waitcnt vmcnt(0)
	v_add_co_u32 v8, s16, v12, v8
	v_add_co_ci_u32_e64 v9, null, v13, v9, s16
	v_add_co_u32 v10, s16, v14, v10
	v_sub_co_u32 v13, s18, 0, v38
	v_sub_co_u32 v21, s20, 0, v26
	v_add_co_ci_u32_e64 v11, null, v15, v11, s16
	v_cmp_gt_i64_e64 s16, 0, v[36:37]
	v_sub_co_ci_u32_e64 v14, null, 0, v39, s18
	v_cmp_gt_i64_e64 s18, 0, v[24:25]
	v_sub_co_ci_u32_e64 v22, null, 0, v27, s20
	v_cmp_gt_i64_e64 s20, 0, v[16:17]
	v_sub_co_u32 v15, s19, 0, v24
	v_sub_co_u32 v23, s21, 0, v16
	;; [unrolled: 1-line block ×3, first 2 shown]
	v_sub_co_ci_u32_e64 v20, null, 0, v25, s19
	v_sub_co_ci_u32_e64 v32, null, 0, v17, s21
	s_and_b32 s16, s91, s16
	s_and_b32 s18, s91, s18
	;; [unrolled: 1-line block ×3, first 2 shown]
	v_cndmask_b32_e64 v20, v25, v20, s18
	v_cndmask_b32_e64 v25, v17, v32, s20
	;; [unrolled: 1-line block ×3, first 2 shown]
	v_sub_co_ci_u32_e64 v12, null, 0, v37, s17
	v_sub_co_u32 v33, s22, 0, v18
	v_cmp_gt_i64_e64 s19, 0, v[26:27]
	v_cmp_gt_i64_e64 s21, 0, v[18:19]
	v_sub_co_ci_u32_e64 v34, null, 0, v19, s22
	v_cmp_gt_i64_e64 s22, 0, v[8:9]
	v_mul_hi_u32 v2, v17, v40
	v_sub_co_u32 v35, s23, 0, v8
	v_sub_co_ci_u32_e64 v48, null, 0, v9, s23
	v_cndmask_b32_e64 v37, v37, v12, s16
	s_and_b32 s19, s91, s19
	s_and_b32 s21, s91, s21
	;; [unrolled: 1-line block ×3, first 2 shown]
	v_cndmask_b32_e64 v21, v26, v21, s19
	v_cndmask_b32_e64 v32, v9, v48, s22
	;; [unrolled: 1-line block ×4, first 2 shown]
	v_mad_u64_u32 v[8:9], null, v37, v40, v[2:3]
	v_cmp_gt_i64_e64 s17, 0, v[38:39]
	v_cmp_gt_i64_e64 s23, 0, v[10:11]
	v_sub_co_u32 v49, s24, 0, v10
	v_sub_co_ci_u32_e64 v50, null, 0, v11, s24
	v_mov_b32_e32 v2, v8
	v_mov_b32_e32 v56, v9
	s_and_b32 s17, s91, s17
	s_and_b32 s23, s91, s23
	v_cndmask_b32_e64 v22, v27, v22, s19
	v_cndmask_b32_e64 v27, v19, v34, s21
	;; [unrolled: 1-line block ×5, first 2 shown]
	v_mad_u64_u32 v[8:9], null, v17, v41, v[2:3]
	v_mad_u64_u32 v[10:11], null, v37, v41, v[56:57]
	v_mul_hi_u32 v2, v19, v40
	v_cndmask_b32_e64 v39, v39, v14, s17
	v_cndmask_b32_e64 v24, v24, v15, s18
	;; [unrolled: 1-line block ×3, first 2 shown]
	s_or_b32 s90, vcc_lo, s90
	v_add_co_u32 v15, s24, v10, v9
	v_mad_u64_u32 v[8:9], null, v39, v40, v[2:3]
	v_add_co_ci_u32_e64 v16, null, 0, v11, s24
	v_mad_u64_u32 v[10:11], null, v15, s26, 0
	v_mov_b32_e32 v2, v8
	v_mov_b32_e32 v57, v9
	;; [unrolled: 1-line block ×3, first 2 shown]
	v_mad_u64_u32 v[11:12], null, v19, v41, v[2:3]
	v_mad_u64_u32 v[13:14], null, v39, v41, v[57:58]
	;; [unrolled: 1-line block ×3, first 2 shown]
	v_mul_hi_u32 v2, v24, v40
	v_sub_co_u32 v9, s24, v17, v10
	v_add_co_u32 v17, s25, v13, v12
	v_sub_co_ci_u32_e64 v10, null, v37, v8, s24
	v_mad_u64_u32 v[11:12], null, v20, v40, v[2:3]
	v_add_co_ci_u32_e64 v18, null, 0, v14, s25
	v_cmp_le_u64_e64 s24, s[26:27], v[9:10]
	v_mad_u64_u32 v[13:14], null, v17, s26, 0
	v_mov_b32_e32 v2, v11
	v_mov_b32_e32 v58, v12
	v_cndmask_b32_e64 v36, 0, 1, s24
	v_mad_u64_u32 v[9:10], null, v24, v41, v[2:3]
	v_add_co_u32 v36, s24, v15, v36
	v_mov_b32_e32 v8, v14
	v_add_co_ci_u32_e64 v9, null, 0, v16, s24
	v_mad_u64_u32 v[11:12], null, v20, v41, v[58:59]
	v_mul_hi_u32 v2, v21, v40
	v_mad_u64_u32 v[14:15], null, v18, s26, v[8:9]
	v_sub_co_u32 v13, s24, v19, v13
	v_sub_co_u32 v8, s25, 0, v36
	v_sub_co_ci_u32_e64 v15, null, 0, v9, s25
	v_sub_co_ci_u32_e64 v14, null, v39, v14, s24
	v_add_co_u32 v19, s25, v11, v10
	v_mad_u64_u32 v[10:11], null, v22, v40, v[2:3]
	v_cndmask_b32_e64 v9, v9, v15, s16
	v_cndmask_b32_e64 v8, v36, v8, s16
	v_cmp_le_u64_e64 s16, s[26:27], v[13:14]
	v_mad_u64_u32 v[15:16], null, v19, s26, 0
	v_add_co_ci_u32_e64 v37, null, 0, v12, s25
	v_mov_b32_e32 v2, v10
	v_cndmask_b32_e64 v36, 0, 1, s16
	v_mov_b32_e32 v59, v11
	v_mov_b32_e32 v10, v16
	v_mad_u64_u32 v[11:12], null, v21, v41, v[2:3]
	v_add_co_u32 v36, s16, v17, v36
	v_add_co_ci_u32_e64 v11, null, 0, v18, s16
	v_mad_u64_u32 v[13:14], null, v22, v41, v[59:60]
	v_mul_hi_u32 v2, v23, v40
	v_mad_u64_u32 v[16:17], null, v37, s26, v[10:11]
	v_sub_co_u32 v15, s16, v24, v15
	v_sub_co_u32 v10, s24, 0, v36
	v_sub_co_ci_u32_e64 v17, null, 0, v11, s24
	v_sub_co_ci_u32_e64 v16, null, v20, v16, s16
	v_add_co_u32 v24, s24, v13, v12
	v_mad_u64_u32 v[12:13], null, v25, v40, v[2:3]
	v_cmp_le_u64_e64 s16, s[26:27], v[15:16]
	v_cndmask_b32_e64 v11, v11, v17, s17
	v_mad_u64_u32 v[17:18], null, v24, s26, 0
	v_cndmask_b32_e64 v10, v36, v10, s17
	v_add_co_ci_u32_e64 v38, null, 0, v14, s24
	v_mov_b32_e32 v60, v13
	v_cndmask_b32_e64 v13, 0, 1, s16
	v_mov_b32_e32 v2, v12
	global_store_dwordx4 v[46:47], v[8:11], off glc slc
	v_mov_b32_e32 v8, v18
	v_mad_u64_u32 v[11:12], null, v25, v41, v[60:61]
	v_add_co_u32 v15, s16, v19, v13
	v_mad_u64_u32 v[9:10], null, v23, v41, v[2:3]
	v_add_co_ci_u32_e64 v9, null, 0, v37, s16
	v_mul_hi_u32 v2, v26, v40
	v_mad_u64_u32 v[13:14], null, v38, s26, v[8:9]
	v_sub_co_u32 v8, s17, 0, v15
	v_sub_co_u32 v14, s16, v21, v17
	v_sub_co_ci_u32_e64 v16, null, 0, v9, s17
	v_cndmask_b32_e64 v8, v15, v8, s18
	v_sub_co_ci_u32_e64 v15, null, v22, v13, s16
	v_add_co_u32 v20, s17, v11, v10
	v_mad_u64_u32 v[10:11], null, v27, v40, v[2:3]
	v_cmp_le_u64_e64 s16, s[26:27], v[14:15]
	v_cndmask_b32_e64 v9, v9, v16, s18
	v_mad_u64_u32 v[16:17], null, v20, s26, 0
	v_add_co_ci_u32_e64 v21, null, 0, v12, s17
	v_cndmask_b32_e64 v15, 0, 1, s16
	v_mov_b32_e32 v2, v10
	v_mov_b32_e32 v61, v11
	;; [unrolled: 1-line block ×3, first 2 shown]
	v_add_co_u32 v19, s16, v24, v15
	v_mad_u64_u32 v[11:12], null, v26, v41, v[2:3]
	v_add_co_ci_u32_e64 v11, null, 0, v38, s16
	v_mad_u64_u32 v[13:14], null, v27, v41, v[61:62]
	v_mul_hi_u32 v2, v33, v40
	v_mad_u64_u32 v[17:18], null, v21, s26, v[10:11]
	v_sub_co_u32 v10, s17, 0, v19
	v_sub_co_u32 v15, s16, v23, v16
	v_sub_co_ci_u32_e64 v16, null, 0, v11, s17
	v_add_co_u32 v22, s17, v13, v12
	v_mad_u64_u32 v[12:13], null, v32, v40, v[2:3]
	v_cndmask_b32_e64 v11, v11, v16, s19
	v_sub_co_ci_u32_e64 v16, null, v25, v17, s16
	v_cndmask_b32_e64 v10, v19, v10, s19
	v_mad_u64_u32 v[18:19], null, v22, s26, 0
	v_cmp_le_u64_e64 s16, s[26:27], v[15:16]
	v_mov_b32_e32 v62, v13
	v_mov_b32_e32 v2, v12
	global_store_dwordx4 v[46:47], v[8:11], off offset:512 glc slc
	v_add_co_ci_u32_e64 v23, null, 0, v14, s17
	v_cndmask_b32_e64 v13, 0, 1, s16
	v_mad_u64_u32 v[9:10], null, v33, v41, v[2:3]
	v_mov_b32_e32 v8, v19
	v_mad_u64_u32 v[11:12], null, v32, v41, v[62:63]
	v_add_co_u32 v15, s16, v20, v13
	v_add_co_ci_u32_e64 v9, null, 0, v21, s16
	v_mul_hi_u32 v2, v35, v40
	v_mad_u64_u32 v[13:14], null, v23, s26, v[8:9]
	v_sub_co_u32 v8, s17, 0, v15
	v_sub_co_u32 v14, s16, v26, v18
	v_sub_co_ci_u32_e64 v16, null, 0, v9, s17
	v_cndmask_b32_e64 v8, v15, v8, s20
	v_sub_co_ci_u32_e64 v15, null, v27, v13, s16
	v_add_co_u32 v19, s17, v11, v10
	v_mad_u64_u32 v[10:11], null, v34, v40, v[2:3]
	v_cmp_le_u64_e64 s16, s[26:27], v[14:15]
	v_cndmask_b32_e64 v9, v9, v16, s20
	v_mad_u64_u32 v[16:17], null, v19, s26, 0
	v_add_co_ci_u32_e64 v20, null, 0, v12, s17
	v_mov_b32_e32 v2, v10
	v_cndmask_b32_e64 v15, 0, 1, s16
	v_mov_b32_e32 v72, v11
	v_mov_b32_e32 v10, v17
	v_mad_u64_u32 v[11:12], null, v35, v41, v[2:3]
	v_add_co_u32 v2, s16, v22, v15
	v_add_co_ci_u32_e64 v11, null, 0, v23, s16
	v_mad_u64_u32 v[13:14], null, v34, v41, v[72:73]
	v_sub_co_u32 v15, s16, v33, v16
	v_mad_u64_u32 v[17:18], null, v20, s26, v[10:11]
	v_sub_co_u32 v10, s17, 0, v2
	v_sub_co_ci_u32_e64 v16, null, 0, v11, s17
	v_add_co_u32 v18, s17, v13, v12
	v_cndmask_b32_e64 v10, v2, v10, s21
	v_cndmask_b32_e64 v11, v11, v16, s21
	v_sub_co_ci_u32_e64 v16, null, v32, v17, s16
	v_mad_u64_u32 v[12:13], null, v18, s26, 0
	global_store_dwordx4 v[46:47], v[8:11], off offset:1024 glc slc
	v_cmp_le_u64_e64 s16, s[26:27], v[15:16]
	v_add_co_ci_u32_e64 v14, null, 0, v14, s17
	v_mov_b32_e32 v2, v13
	v_cndmask_b32_e64 v8, 0, 1, s16
	v_mad_u64_u32 v[10:11], null, v14, s26, v[2:3]
	v_add_co_u32 v8, s16, v19, v8
	v_add_co_ci_u32_e64 v9, null, 0, v20, s16
	v_sub_co_u32 v11, s16, v35, v12
	v_sub_co_u32 v2, s17, 0, v8
	v_sub_co_ci_u32_e64 v12, null, 0, v9, s17
	v_cndmask_b32_e64 v8, v8, v2, s22
	v_cndmask_b32_e64 v9, v9, v12, s22
	v_sub_co_ci_u32_e64 v12, null, v34, v10, s16
	v_cmp_le_u64_e64 s16, s[26:27], v[11:12]
	v_cndmask_b32_e64 v2, 0, 1, s16
	v_add_co_u32 v2, s16, v18, v2
	v_add_co_ci_u32_e64 v10, null, 0, v14, s16
	v_sub_co_u32 v12, s16, 0, v2
	v_sub_co_ci_u32_e64 v11, null, 0, v10, s16
	v_cndmask_b32_e64 v11, v10, v11, s23
	v_cndmask_b32_e64 v10, v2, v12, s23
	global_store_dwordx4 v[46:47], v[8:11], off offset:1536 glc slc
	v_add_co_u32 v46, s16, v46, v107
	v_add_co_ci_u32_e64 v47, null, 0, v47, s16
	s_andn2_b32 exec_lo, exec_lo, s90
	s_cbranch_execnz .LBB6_642
; %bb.643:                              ;   in Loop: Header=BB6_497 Depth=2
	s_or_b32 exec_lo, exec_lo, s90
.LBB6_644:                              ;   in Loop: Header=BB6_497 Depth=2
	s_or_b32 exec_lo, exec_lo, s28
	v_lshlrev_b32_e32 v18, 11, v53
	s_mov_b32 s21, exec_lo
                                        ; implicit-def: $vgpr16
                                        ; implicit-def: $vgpr2
                                        ; implicit-def: $vgpr17
	v_cmpx_ne_u32_e64 v113, v18
	s_cbranch_execz .LBB6_657
; %bb.645:                              ;   in Loop: Header=BB6_497 Depth=2
	v_mov_b32_e32 v8, -1
	v_mov_b32_e32 v9, -1
	s_cmp_lt_i32 s26, 1
	s_cbranch_scc1 .LBB6_650
; %bb.646:                              ;   in Loop: Header=BB6_497 Depth=2
	s_cmp_lg_u32 s26, 1
	s_cbranch_scc1 .LBB6_648
; %bb.647:                              ;   in Loop: Header=BB6_497 Depth=2
	s_mov_b32 s28, s27
	s_mov_b64 s[18:19], 1
	s_mov_b64 s[16:17], s[28:29]
	s_branch .LBB6_649
.LBB6_648:                              ;   in Loop: Header=BB6_497 Depth=2
	s_mov_b64 s[18:19], 3
	s_mov_b64 s[16:17], 0
.LBB6_649:                              ;   in Loop: Header=BB6_497 Depth=2
	v_cmp_lt_u64_e64 s19, s[18:19], s[26:27]
	s_or_b32 s20, s17, 2.0
	s_and_b32 s19, s19, exec_lo
	s_cselect_b32 s19, 0, s26
	s_cselect_b32 s17, s17, s20
	s_sub_i32 s18, s18, s19
	s_mov_b32 s19, s27
	s_lshl_b32 s18, s18, 1
	s_or_b32 s20, s17, 0x20000000
	s_or_b32 s18, s18, 1
	v_cmp_lt_u64_e64 s19, s[18:19], s[26:27]
	s_and_b32 s19, s19, exec_lo
	s_cselect_b32 s19, 0, s26
	s_cselect_b32 s17, s17, s20
	s_cselect_b32 s20, 0, 0
	s_sub_u32 s18, s18, s19
	s_subb_u32 s19, 0, s20
	s_or_b32 s22, s17, 0x10000000
	s_lshl_b64 s[18:19], s[18:19], 1
	s_or_b32 s18, s18, 1
	v_cmp_lt_u64_e64 s20, s[18:19], s[26:27]
	s_and_b32 s20, s20, exec_lo
	s_cselect_b32 s20, 0, s26
	s_cselect_b32 s17, s17, s22
	s_cselect_b32 s22, 0, 0
	s_sub_u32 s18, s18, s20
	s_subb_u32 s19, s19, s22
	s_or_b32 s22, s17, 0x8000000
	s_lshl_b64 s[18:19], s[18:19], 1
	;; [unrolled: 10-line block ×30, first 2 shown]
	v_mov_b32_e32 v9, s17
	s_or_b32 s18, s18, 1
	v_cmp_lt_u64_e64 s20, s[18:19], s[26:27]
	s_and_b32 s20, s20, exec_lo
	s_cselect_b32 s20, 0, s26
	s_cselect_b32 s16, s16, s22
	;; [unrolled: 1-line block ×3, first 2 shown]
	s_sub_u32 s18, s18, s20
	s_subb_u32 s19, s19, s22
	s_or_b32 s22, s16, 2.0
	s_lshl_b64 s[18:19], s[18:19], 1
	s_or_b32 s18, s18, 1
	v_cmp_lt_u64_e64 s20, s[18:19], s[26:27]
	s_and_b32 s20, s20, exec_lo
	s_cselect_b32 s20, 0, s26
	s_cselect_b32 s16, s16, s22
	s_cselect_b32 s22, 0, 0
	s_sub_u32 s18, s18, s20
	s_subb_u32 s19, s19, s22
	s_or_b32 s22, s16, 0x20000000
	s_lshl_b64 s[18:19], s[18:19], 1
	s_or_b32 s18, s18, 1
	v_cmp_lt_u64_e64 s20, s[18:19], s[26:27]
	s_and_b32 s20, s20, exec_lo
	s_cselect_b32 s20, 0, s26
	s_cselect_b32 s16, s16, s22
	s_cselect_b32 s22, 0, 0
	s_sub_u32 s18, s18, s20
	s_subb_u32 s19, s19, s22
	s_or_b32 s22, s16, 0x10000000
	;; [unrolled: 10-line block ×29, first 2 shown]
	s_lshl_b64 s[18:19], s[18:19], 1
	s_or_b32 s18, s18, 1
	v_cmp_lt_u64_e64 s20, s[18:19], s[26:27]
	s_and_b32 s20, s20, exec_lo
	s_cselect_b32 s20, 0, s26
	s_cselect_b32 s16, s16, s22
	;; [unrolled: 1-line block ×3, first 2 shown]
	s_sub_u32 s18, s18, s20
	s_subb_u32 s19, s19, s22
	s_lshl_b64 s[18:19], s[18:19], 1
	s_or_b32 s18, s18, 1
	v_cmp_ge_u64_e64 s18, s[18:19], s[26:27]
	v_cndmask_b32_e64 v2, 0, 1, s18
	v_or_b32_e32 v8, s16, v2
.LBB6_650:                              ;   in Loop: Header=BB6_497 Depth=2
	v_lshlrev_b32_e32 v2, 5, v52
	v_sub_nc_u32_e32 v11, v113, v18
	s_mov_b32 s22, exec_lo
	v_sub_nc_u32_e32 v2, v90, v2
	v_ashrrev_i32_e32 v12, 31, v11
	v_ashrrev_i32_e32 v10, 31, v2
	v_lshrrev_b32_e32 v12, 23, v12
	v_lshrrev_b32_e32 v10, 27, v10
	v_add_nc_u32_e32 v12, v11, v12
	v_add_nc_u32_e32 v10, v2, v10
	v_and_b32_e32 v19, 0xfffffe00, v12
	v_ashrrev_i32_e32 v12, 9, v12
	v_and_b32_e32 v13, 0xffffffe0, v10
	v_sub_nc_u32_e32 v21, v11, v19
	v_ashrrev_i32_e32 v10, 5, v10
	v_sub_nc_u32_e32 v20, v2, v13
	v_cmp_lt_i32_e32 vcc_lo, 15, v21
	v_lshlrev_b32_e32 v2, 4, v20
	v_add_co_ci_u32_e64 v12, null, 0, v12, vcc_lo
	v_lshl_add_u32 v2, v10, 9, v2
	v_sub_nc_u32_e32 v22, v12, v10
	v_sub_nc_u32_e32 v16, v11, v2
	v_cmpx_lt_i32_e32 15, v16
	s_cbranch_execz .LBB6_654
; %bb.651:                              ;   in Loop: Header=BB6_497 Depth=2
	s_trap 2
	ds_read_b64 v[12:13], v0
	v_add_nc_u32_e32 v2, v2, v18
	s_cmp_lt_i32 s88, 0
	s_mov_b32 s23, 0
	s_cselect_b32 s24, -1, 0
	v_ashrrev_i32_e32 v15, 31, v2
	v_add_co_u32 v10, s16, v2, v116
	v_add_co_ci_u32_e64 v11, null, v15, v117, s16
	s_waitcnt lgkmcnt(0)
	v_add_co_u32 v12, s16, v12, v2
	v_add_co_ci_u32_e64 v13, null, v13, v15, s16
	v_add_co_u32 v14, s16, v2, v118
	v_add_co_ci_u32_e64 v15, null, v15, v119, s16
.LBB6_652:                              ;   Parent Loop BB6_47 Depth=1
                                        ;     Parent Loop BB6_497 Depth=2
                                        ; =>    This Inner Loop Header: Depth=3
	global_load_dwordx4 v[23:26], v[10:11], off slc
	global_load_dwordx4 v[32:35], v[12:13], off slc
	v_mov_b32_e32 v27, v3
	v_mov_b32_e32 v36, v3
	v_sub_nc_u32_e32 v16, v16, v104
	v_add_co_u32 v10, s16, v10, v104
	v_add_co_ci_u32_e64 v11, null, 0, v11, s16
	v_add_co_u32 v12, s16, v12, v104
	v_add_co_ci_u32_e64 v13, null, 0, v13, s16
	v_cmp_gt_i32_e64 s16, 16, v16
	v_sub_nc_u32_e32 v22, v22, v89
	s_waitcnt vmcnt(0)
	v_add_co_u32 v23, s17, v32, v23
	v_add_co_ci_u32_e64 v24, null, v33, v24, s17
	v_add_co_u32 v25, s17, v34, v25
	v_add_co_ci_u32_e64 v26, null, v35, v26, s17
	v_cmp_gt_i64_e64 s17, 0, v[23:24]
	v_sub_co_u32 v2, s18, 0, v23
	v_sub_co_ci_u32_e64 v17, null, 0, v24, s18
	v_cmp_gt_i64_e64 s18, 0, v[25:26]
	s_and_b32 s17, s24, s17
	v_sub_co_u32 v32, s19, 0, v25
	v_cndmask_b32_e64 v38, v23, v2, s17
	v_cndmask_b32_e64 v34, v24, v17, s17
	v_sub_co_ci_u32_e64 v33, null, 0, v26, s19
	s_and_b32 s18, s24, s18
	v_mul_hi_u32 v2, v38, v8
	v_cndmask_b32_e64 v39, v25, v32, s18
	v_cndmask_b32_e64 v37, v26, v33, s18
	s_or_b32 s23, s16, s23
	v_mad_u64_u32 v[23:24], null, v34, v8, v[2:3]
	v_mov_b32_e32 v2, v23
	v_mov_b32_e32 v26, v24
	v_mad_u64_u32 v[23:24], null, v38, v9, v[2:3]
	v_mad_u64_u32 v[25:26], null, v34, v9, v[26:27]
	v_mul_hi_u32 v2, v39, v8
	v_add_co_u32 v48, s19, v25, v24
	v_mad_u64_u32 v[23:24], null, v37, v8, v[2:3]
	v_add_co_ci_u32_e64 v49, null, 0, v26, s19
	v_mad_u64_u32 v[25:26], null, v48, s26, 0
	v_mov_b32_e32 v2, v23
	v_mov_b32_e32 v35, v24
	;; [unrolled: 1-line block ×3, first 2 shown]
	v_mad_u64_u32 v[23:24], null, v39, v9, v[2:3]
	v_mad_u64_u32 v[26:27], null, v37, v9, v[35:36]
	;; [unrolled: 1-line block ×3, first 2 shown]
	v_sub_co_u32 v23, s19, v38, v25
	v_add_co_u32 v17, s20, v26, v24
	v_sub_co_ci_u32_e64 v24, null, v34, v32, s19
	v_add_co_ci_u32_e64 v33, null, 0, v27, s20
	v_mad_u64_u32 v[25:26], null, v17, s26, 0
	v_cmp_le_u64_e64 s19, s[26:27], v[23:24]
	v_mov_b32_e32 v2, v26
	v_cndmask_b32_e64 v23, 0, 1, s19
	v_mad_u64_u32 v[26:27], null, v33, s26, v[2:3]
	v_add_co_u32 v23, s19, v48, v23
	v_add_co_ci_u32_e64 v24, null, 0, v49, s19
	v_sub_co_u32 v25, s19, v39, v25
	v_sub_co_u32 v2, s20, 0, v23
	v_sub_co_ci_u32_e64 v27, null, 0, v24, s20
	v_sub_co_ci_u32_e64 v26, null, v37, v26, s19
	v_cndmask_b32_e64 v23, v23, v2, s17
	v_cndmask_b32_e64 v24, v24, v27, s17
	v_cmp_le_u64_e64 s17, s[26:27], v[25:26]
	v_cndmask_b32_e64 v2, 0, 1, s17
	v_add_co_u32 v2, s17, v17, v2
	v_add_co_ci_u32_e64 v17, null, 0, v33, s17
	v_sub_co_u32 v25, s17, 0, v2
	v_sub_co_ci_u32_e64 v26, null, 0, v17, s17
	v_cndmask_b32_e64 v25, v2, v25, s18
	v_cndmask_b32_e64 v26, v17, v26, s18
	global_store_dwordx4 v[14:15], v[23:26], off glc slc
	v_add_co_u32 v14, s17, v14, v104
	v_add_co_ci_u32_e64 v15, null, 0, v15, s17
	s_andn2_b32 exec_lo, exec_lo, s23
	s_cbranch_execnz .LBB6_652
; %bb.653:                              ;   in Loop: Header=BB6_497 Depth=2
	s_or_b32 exec_lo, exec_lo, s23
.LBB6_654:                              ;   in Loop: Header=BB6_497 Depth=2
	s_or_b32 exec_lo, exec_lo, s22
	v_and_b32_e32 v8, 8, v113
	s_mov_b32 s18, s89
	s_mov_b32 s17, exec_lo
                                        ; implicit-def: $vgpr16
                                        ; implicit-def: $vgpr2
                                        ; implicit-def: $vgpr17
	v_cndmask_b32_e32 v113, v21, v8, vcc_lo
	v_cmpx_ne_u32_e32 0, v113
	s_cbranch_execz .LBB6_656
; %bb.655:                              ;   in Loop: Header=BB6_497 Depth=2
	v_cmp_lt_i32_e64 s16, 0, v22
	v_sub_nc_u32_e32 v8, v21, v8
	s_or_b32 s18, s89, exec_lo
	v_cndmask_b32_e64 v2, 0, v89, s16
	v_cndmask_b32_e32 v8, 0, v8, vcc_lo
	v_sub_nc_u32_e32 v2, v2, v22
	v_add3_u32 v16, v19, v18, v8
	v_lshl_add_u32 v2, v2, 5, v20
	v_ashrrev_i32_e32 v9, 31, v2
	v_lshrrev_b32_e32 v9, 27, v9
	v_add_nc_u32_e32 v9, v2, v9
	v_and_b32_e32 v9, 0xffffffe0, v9
	v_sub_nc_u32_e32 v17, v2, v9
.LBB6_656:                              ;   in Loop: Header=BB6_497 Depth=2
	s_or_b32 exec_lo, exec_lo, s17
	s_andn2_b32 s16, s89, exec_lo
	s_and_b32 s17, s18, exec_lo
	s_or_b32 s89, s16, s17
.LBB6_657:                              ;   in Loop: Header=BB6_497 Depth=2
	s_or_b32 exec_lo, exec_lo, s21
	s_mov_b64 s[22:23], s[26:27]
	s_and_saveexec_b32 s21, s89
	s_cbranch_execz .LBB6_676
.LBB6_658:                              ;   in Loop: Header=BB6_497 Depth=2
	v_mov_b32_e32 v8, -1
	v_mov_b32_e32 v9, -1
	s_cmp_lt_i32 s26, 1
	s_cbranch_scc1 .LBB6_663
; %bb.659:                              ;   in Loop: Header=BB6_497 Depth=2
	s_cmp_lg_u32 s26, 1
	s_cbranch_scc1 .LBB6_661
; %bb.660:                              ;   in Loop: Header=BB6_497 Depth=2
	s_mov_b32 s28, s27
	s_mov_b64 s[18:19], 1
	s_mov_b64 s[16:17], s[28:29]
	s_branch .LBB6_662
.LBB6_661:                              ;   in Loop: Header=BB6_497 Depth=2
	s_mov_b64 s[18:19], 3
	s_mov_b64 s[16:17], 0
.LBB6_662:                              ;   in Loop: Header=BB6_497 Depth=2
	v_cmp_lt_u64_e64 s19, s[18:19], s[22:23]
	s_or_b32 s20, s17, 2.0
	s_and_b32 s19, s19, exec_lo
	s_cselect_b32 s19, 0, s22
	s_cselect_b32 s17, s17, s20
	s_sub_i32 s18, s18, s19
	s_mov_b32 s19, s27
	s_lshl_b32 s18, s18, 1
	s_or_b32 s20, s17, 0x20000000
	s_or_b32 s18, s18, 1
	v_cmp_lt_u64_e64 s19, s[18:19], s[22:23]
	s_and_b32 s19, s19, exec_lo
	s_cselect_b32 s19, 0, s22
	s_cselect_b32 s17, s17, s20
	s_cselect_b32 s20, 0, s23
	s_sub_u32 s18, s18, s19
	s_subb_u32 s19, 0, s20
	s_or_b32 s24, s17, 0x10000000
	s_lshl_b64 s[18:19], s[18:19], 1
	s_or_b32 s18, s18, 1
	v_cmp_lt_u64_e64 s20, s[18:19], s[22:23]
	s_and_b32 s20, s20, exec_lo
	s_cselect_b32 s20, 0, s22
	s_cselect_b32 s17, s17, s24
	s_cselect_b32 s24, 0, s23
	s_sub_u32 s18, s18, s20
	s_subb_u32 s19, s19, s24
	s_or_b32 s24, s17, 0x8000000
	s_lshl_b64 s[18:19], s[18:19], 1
	;; [unrolled: 10-line block ×30, first 2 shown]
	v_mov_b32_e32 v9, s17
	s_or_b32 s18, s18, 1
	v_cmp_lt_u64_e64 s20, s[18:19], s[22:23]
	s_and_b32 s20, s20, exec_lo
	s_cselect_b32 s20, 0, s22
	s_cselect_b32 s16, s16, s24
	;; [unrolled: 1-line block ×3, first 2 shown]
	s_sub_u32 s18, s18, s20
	s_subb_u32 s19, s19, s24
	s_or_b32 s24, s16, 2.0
	s_lshl_b64 s[18:19], s[18:19], 1
	s_or_b32 s18, s18, 1
	v_cmp_lt_u64_e64 s20, s[18:19], s[22:23]
	s_and_b32 s20, s20, exec_lo
	s_cselect_b32 s20, 0, s22
	s_cselect_b32 s16, s16, s24
	s_cselect_b32 s24, 0, s23
	s_sub_u32 s18, s18, s20
	s_subb_u32 s19, s19, s24
	s_or_b32 s24, s16, 0x20000000
	s_lshl_b64 s[18:19], s[18:19], 1
	s_or_b32 s18, s18, 1
	v_cmp_lt_u64_e64 s20, s[18:19], s[22:23]
	s_and_b32 s20, s20, exec_lo
	s_cselect_b32 s20, 0, s22
	s_cselect_b32 s16, s16, s24
	s_cselect_b32 s24, 0, s23
	s_sub_u32 s18, s18, s20
	s_subb_u32 s19, s19, s24
	s_or_b32 s24, s16, 0x10000000
	s_lshl_b64 s[18:19], s[18:19], 1
	s_or_b32 s18, s18, 1
	v_cmp_lt_u64_e64 s20, s[18:19], s[22:23]
	s_and_b32 s20, s20, exec_lo
	s_cselect_b32 s20, 0, s22
	s_cselect_b32 s16, s16, s24
	s_cselect_b32 s24, 0, s23
	s_sub_u32 s18, s18, s20
	s_subb_u32 s19, s19, s24
	s_or_b32 s24, s16, 0x8000000
	s_lshl_b64 s[18:19], s[18:19], 1
	s_or_b32 s18, s18, 1
	v_cmp_lt_u64_e64 s20, s[18:19], s[22:23]
	s_and_b32 s20, s20, exec_lo
	s_cselect_b32 s20, 0, s22
	s_cselect_b32 s16, s16, s24
	s_cselect_b32 s24, 0, s23
	s_sub_u32 s18, s18, s20
	s_subb_u32 s19, s19, s24
	s_or_b32 s24, s16, 0x4000000
	s_lshl_b64 s[18:19], s[18:19], 1
	s_or_b32 s18, s18, 1
	v_cmp_lt_u64_e64 s20, s[18:19], s[22:23]
	s_and_b32 s20, s20, exec_lo
	s_cselect_b32 s20, 0, s22
	s_cselect_b32 s16, s16, s24
	s_cselect_b32 s24, 0, s23
	s_sub_u32 s18, s18, s20
	s_subb_u32 s19, s19, s24
	s_or_b32 s24, s16, 0x2000000
	s_lshl_b64 s[18:19], s[18:19], 1
	s_or_b32 s18, s18, 1
	v_cmp_lt_u64_e64 s20, s[18:19], s[22:23]
	s_and_b32 s20, s20, exec_lo
	s_cselect_b32 s20, 0, s22
	s_cselect_b32 s16, s16, s24
	s_cselect_b32 s24, 0, s23
	s_sub_u32 s18, s18, s20
	s_subb_u32 s19, s19, s24
	s_or_b32 s24, s16, 0x1000000
	s_lshl_b64 s[18:19], s[18:19], 1
	s_or_b32 s18, s18, 1
	v_cmp_lt_u64_e64 s20, s[18:19], s[22:23]
	s_and_b32 s20, s20, exec_lo
	s_cselect_b32 s20, 0, s22
	s_cselect_b32 s16, s16, s24
	s_cselect_b32 s24, 0, s23
	s_sub_u32 s18, s18, s20
	s_subb_u32 s19, s19, s24
	s_or_b32 s24, s16, 0x800000
	s_lshl_b64 s[18:19], s[18:19], 1
	s_or_b32 s18, s18, 1
	v_cmp_lt_u64_e64 s20, s[18:19], s[22:23]
	s_and_b32 s20, s20, exec_lo
	s_cselect_b32 s20, 0, s22
	s_cselect_b32 s16, s16, s24
	s_cselect_b32 s24, 0, s23
	s_sub_u32 s18, s18, s20
	s_subb_u32 s19, s19, s24
	s_or_b32 s24, s16, 0x400000
	s_lshl_b64 s[18:19], s[18:19], 1
	s_or_b32 s18, s18, 1
	v_cmp_lt_u64_e64 s20, s[18:19], s[22:23]
	s_and_b32 s20, s20, exec_lo
	s_cselect_b32 s20, 0, s22
	s_cselect_b32 s16, s16, s24
	s_cselect_b32 s24, 0, s23
	s_sub_u32 s18, s18, s20
	s_subb_u32 s19, s19, s24
	s_or_b32 s24, s16, 0x200000
	s_lshl_b64 s[18:19], s[18:19], 1
	s_or_b32 s18, s18, 1
	v_cmp_lt_u64_e64 s20, s[18:19], s[22:23]
	s_and_b32 s20, s20, exec_lo
	s_cselect_b32 s20, 0, s22
	s_cselect_b32 s16, s16, s24
	s_cselect_b32 s24, 0, s23
	s_sub_u32 s18, s18, s20
	s_subb_u32 s19, s19, s24
	s_or_b32 s24, s16, 0x100000
	s_lshl_b64 s[18:19], s[18:19], 1
	s_or_b32 s18, s18, 1
	v_cmp_lt_u64_e64 s20, s[18:19], s[22:23]
	s_and_b32 s20, s20, exec_lo
	s_cselect_b32 s20, 0, s22
	s_cselect_b32 s16, s16, s24
	s_cselect_b32 s24, 0, s23
	s_sub_u32 s18, s18, s20
	s_subb_u32 s19, s19, s24
	s_or_b32 s24, s16, 0x80000
	s_lshl_b64 s[18:19], s[18:19], 1
	s_or_b32 s18, s18, 1
	v_cmp_lt_u64_e64 s20, s[18:19], s[22:23]
	s_and_b32 s20, s20, exec_lo
	s_cselect_b32 s20, 0, s22
	s_cselect_b32 s16, s16, s24
	s_cselect_b32 s24, 0, s23
	s_sub_u32 s18, s18, s20
	s_subb_u32 s19, s19, s24
	s_or_b32 s24, s16, 0x40000
	s_lshl_b64 s[18:19], s[18:19], 1
	s_or_b32 s18, s18, 1
	v_cmp_lt_u64_e64 s20, s[18:19], s[22:23]
	s_and_b32 s20, s20, exec_lo
	s_cselect_b32 s20, 0, s22
	s_cselect_b32 s16, s16, s24
	s_cselect_b32 s24, 0, s23
	s_sub_u32 s18, s18, s20
	s_subb_u32 s19, s19, s24
	s_or_b32 s24, s16, 0x20000
	s_lshl_b64 s[18:19], s[18:19], 1
	s_or_b32 s18, s18, 1
	v_cmp_lt_u64_e64 s20, s[18:19], s[22:23]
	s_and_b32 s20, s20, exec_lo
	s_cselect_b32 s20, 0, s22
	s_cselect_b32 s16, s16, s24
	s_cselect_b32 s24, 0, s23
	s_sub_u32 s18, s18, s20
	s_subb_u32 s19, s19, s24
	s_or_b32 s24, s16, 0x10000
	s_lshl_b64 s[18:19], s[18:19], 1
	s_or_b32 s18, s18, 1
	v_cmp_lt_u64_e64 s20, s[18:19], s[22:23]
	s_and_b32 s20, s20, exec_lo
	s_cselect_b32 s20, 0, s22
	s_cselect_b32 s16, s16, s24
	s_cselect_b32 s24, 0, s23
	s_sub_u32 s18, s18, s20
	s_subb_u32 s19, s19, s24
	s_or_b32 s24, s16, 0x8000
	s_lshl_b64 s[18:19], s[18:19], 1
	s_or_b32 s18, s18, 1
	v_cmp_lt_u64_e64 s20, s[18:19], s[22:23]
	s_and_b32 s20, s20, exec_lo
	s_cselect_b32 s20, 0, s22
	s_cselect_b32 s16, s16, s24
	s_cselect_b32 s24, 0, s23
	s_sub_u32 s18, s18, s20
	s_subb_u32 s19, s19, s24
	s_or_b32 s24, s16, 0x4000
	s_lshl_b64 s[18:19], s[18:19], 1
	s_or_b32 s18, s18, 1
	v_cmp_lt_u64_e64 s20, s[18:19], s[22:23]
	s_and_b32 s20, s20, exec_lo
	s_cselect_b32 s20, 0, s22
	s_cselect_b32 s16, s16, s24
	s_cselect_b32 s24, 0, s23
	s_sub_u32 s18, s18, s20
	s_subb_u32 s19, s19, s24
	s_or_b32 s24, s16, 0x2000
	s_lshl_b64 s[18:19], s[18:19], 1
	s_or_b32 s18, s18, 1
	v_cmp_lt_u64_e64 s20, s[18:19], s[22:23]
	s_and_b32 s20, s20, exec_lo
	s_cselect_b32 s20, 0, s22
	s_cselect_b32 s16, s16, s24
	s_cselect_b32 s24, 0, s23
	s_sub_u32 s18, s18, s20
	s_subb_u32 s19, s19, s24
	s_or_b32 s24, s16, 0x1000
	s_lshl_b64 s[18:19], s[18:19], 1
	s_or_b32 s18, s18, 1
	v_cmp_lt_u64_e64 s20, s[18:19], s[22:23]
	s_and_b32 s20, s20, exec_lo
	s_cselect_b32 s20, 0, s22
	s_cselect_b32 s16, s16, s24
	s_cselect_b32 s24, 0, s23
	s_sub_u32 s18, s18, s20
	s_subb_u32 s19, s19, s24
	s_or_b32 s24, s16, 0x800
	s_lshl_b64 s[18:19], s[18:19], 1
	s_or_b32 s18, s18, 1
	v_cmp_lt_u64_e64 s20, s[18:19], s[22:23]
	s_and_b32 s20, s20, exec_lo
	s_cselect_b32 s20, 0, s22
	s_cselect_b32 s16, s16, s24
	s_cselect_b32 s24, 0, s23
	s_sub_u32 s18, s18, s20
	s_subb_u32 s19, s19, s24
	s_or_b32 s24, s16, 0x400
	s_lshl_b64 s[18:19], s[18:19], 1
	s_or_b32 s18, s18, 1
	v_cmp_lt_u64_e64 s20, s[18:19], s[22:23]
	s_and_b32 s20, s20, exec_lo
	s_cselect_b32 s20, 0, s22
	s_cselect_b32 s16, s16, s24
	s_cselect_b32 s24, 0, s23
	s_sub_u32 s18, s18, s20
	s_subb_u32 s19, s19, s24
	s_or_b32 s24, s16, 0x200
	s_lshl_b64 s[18:19], s[18:19], 1
	s_or_b32 s18, s18, 1
	v_cmp_lt_u64_e64 s20, s[18:19], s[22:23]
	s_and_b32 s20, s20, exec_lo
	s_cselect_b32 s20, 0, s22
	s_cselect_b32 s16, s16, s24
	s_cselect_b32 s24, 0, s23
	s_sub_u32 s18, s18, s20
	s_subb_u32 s19, s19, s24
	s_or_b32 s24, s16, 0x100
	s_lshl_b64 s[18:19], s[18:19], 1
	s_or_b32 s18, s18, 1
	v_cmp_lt_u64_e64 s20, s[18:19], s[22:23]
	s_and_b32 s20, s20, exec_lo
	s_cselect_b32 s20, 0, s22
	s_cselect_b32 s16, s16, s24
	s_cselect_b32 s24, 0, s23
	s_sub_u32 s18, s18, s20
	s_subb_u32 s19, s19, s24
	s_or_b32 s24, s16, 0x80
	s_lshl_b64 s[18:19], s[18:19], 1
	s_or_b32 s18, s18, 1
	v_cmp_lt_u64_e64 s20, s[18:19], s[22:23]
	s_and_b32 s20, s20, exec_lo
	s_cselect_b32 s20, 0, s22
	s_cselect_b32 s16, s16, s24
	s_cselect_b32 s24, 0, s23
	s_sub_u32 s18, s18, s20
	s_subb_u32 s19, s19, s24
	s_or_b32 s24, s16, 64
	s_lshl_b64 s[18:19], s[18:19], 1
	s_or_b32 s18, s18, 1
	v_cmp_lt_u64_e64 s20, s[18:19], s[22:23]
	s_and_b32 s20, s20, exec_lo
	s_cselect_b32 s20, 0, s22
	s_cselect_b32 s16, s16, s24
	s_cselect_b32 s24, 0, s23
	s_sub_u32 s18, s18, s20
	s_subb_u32 s19, s19, s24
	s_or_b32 s24, s16, 32
	s_lshl_b64 s[18:19], s[18:19], 1
	s_or_b32 s18, s18, 1
	v_cmp_lt_u64_e64 s20, s[18:19], s[22:23]
	s_and_b32 s20, s20, exec_lo
	s_cselect_b32 s20, 0, s22
	s_cselect_b32 s16, s16, s24
	s_cselect_b32 s24, 0, s23
	s_sub_u32 s18, s18, s20
	s_subb_u32 s19, s19, s24
	s_or_b32 s24, s16, 16
	s_lshl_b64 s[18:19], s[18:19], 1
	s_or_b32 s18, s18, 1
	v_cmp_lt_u64_e64 s20, s[18:19], s[22:23]
	s_and_b32 s20, s20, exec_lo
	s_cselect_b32 s20, 0, s22
	s_cselect_b32 s16, s16, s24
	s_cselect_b32 s24, 0, s23
	s_sub_u32 s18, s18, s20
	s_subb_u32 s19, s19, s24
	s_or_b32 s24, s16, 8
	s_lshl_b64 s[18:19], s[18:19], 1
	s_or_b32 s18, s18, 1
	v_cmp_lt_u64_e64 s20, s[18:19], s[22:23]
	s_and_b32 s20, s20, exec_lo
	s_cselect_b32 s20, 0, s22
	s_cselect_b32 s16, s16, s24
	s_cselect_b32 s24, 0, s23
	s_sub_u32 s18, s18, s20
	s_subb_u32 s19, s19, s24
	s_or_b32 s24, s16, 4
	s_lshl_b64 s[18:19], s[18:19], 1
	s_or_b32 s18, s18, 1
	v_cmp_lt_u64_e64 s20, s[18:19], s[22:23]
	s_and_b32 s20, s20, exec_lo
	s_cselect_b32 s20, 0, s22
	s_cselect_b32 s16, s16, s24
	s_cselect_b32 s24, 0, s23
	s_sub_u32 s18, s18, s20
	s_subb_u32 s19, s19, s24
	s_or_b32 s24, s16, 2
	s_lshl_b64 s[18:19], s[18:19], 1
	s_or_b32 s18, s18, 1
	v_cmp_lt_u64_e64 s20, s[18:19], s[22:23]
	s_and_b32 s20, s20, exec_lo
	s_cselect_b32 s20, 0, s22
	s_cselect_b32 s16, s16, s24
	;; [unrolled: 1-line block ×3, first 2 shown]
	s_sub_u32 s18, s18, s20
	s_subb_u32 s19, s19, s24
	s_lshl_b64 s[18:19], s[18:19], 1
	s_or_b32 s18, s18, 1
	v_cmp_ge_u64_e64 s18, s[18:19], s[22:23]
	v_cndmask_b32_e64 v8, 0, 1, s18
	v_or_b32_e32 v8, s16, v8
.LBB6_663:                              ;   in Loop: Header=BB6_497 Depth=2
	v_ashrrev_i32_e32 v10, 31, v2
	v_ashrrev_i32_e32 v11, 31, v113
	s_mov_b32 s24, exec_lo
	v_lshrrev_b32_e32 v10, 27, v10
	v_lshrrev_b32_e32 v11, 22, v11
	v_add_nc_u32_e32 v2, v2, v10
	v_add_nc_u32_e32 v10, v113, v11
	v_ashrrev_i32_e32 v2, 5, v2
	v_ashrrev_i32_e32 v19, 10, v10
	v_sub_nc_u32_e32 v18, v19, v2
	v_cmpx_lt_i32_e32 0, v18
	s_cbranch_execz .LBB6_667
; %bb.664:                              ;   in Loop: Header=BB6_497 Depth=2
	s_trap 2
	ds_read_b64 v[12:13], v0
	v_lshlrev_b32_e32 v2, 10, v2
	v_lshlrev_b32_e32 v10, 3, v17
	s_cmp_lt_i32 s88, 0
	s_mov_b32 s25, 0
	s_cselect_b32 s28, -1, 0
	v_add3_u32 v2, v16, v10, v2
	v_ashrrev_i32_e32 v15, 31, v2
	v_add_co_u32 v10, vcc_lo, v2, v116
	v_add_co_ci_u32_e64 v11, null, v15, v117, vcc_lo
	s_waitcnt lgkmcnt(0)
	v_add_co_u32 v12, vcc_lo, v12, v2
	v_add_co_ci_u32_e64 v13, null, v13, v15, vcc_lo
	v_add_co_u32 v14, vcc_lo, v2, v118
	v_add_co_ci_u32_e64 v15, null, v15, v119, vcc_lo
.LBB6_665:                              ;   Parent Loop BB6_47 Depth=1
                                        ;     Parent Loop BB6_497 Depth=2
                                        ; =>    This Inner Loop Header: Depth=3
	flat_load_dwordx2 v[20:21], v[12:13] slc
	s_clause 0x1
	flat_load_dwordx2 v[22:23], v[10:11] slc
	flat_load_dwordx2 v[24:25], v[10:11] offset:256 slc
	s_clause 0x1
	flat_load_dwordx2 v[26:27], v[12:13] offset:256 slc
	flat_load_dwordx2 v[32:33], v[12:13] offset:512 slc
	s_clause 0x1
	flat_load_dwordx2 v[34:35], v[10:11] offset:512 slc
	flat_load_dwordx2 v[36:37], v[10:11] offset:768 slc
	;; [unrolled: 1-line block ×3, first 2 shown]
	v_mov_b32_e32 v49, v3
	v_mov_b32_e32 v50, v3
	;; [unrolled: 1-line block ×4, first 2 shown]
	v_sub_nc_u32_e32 v18, v18, v89
	v_add_co_u32 v10, vcc_lo, v10, v105
	v_add_co_ci_u32_e64 v11, null, 0, v11, vcc_lo
	v_add_co_u32 v12, vcc_lo, v12, v105
	v_add_co_ci_u32_e64 v13, null, 0, v13, vcc_lo
	v_cmp_gt_i32_e32 vcc_lo, 1, v18
	s_waitcnt vmcnt(6) lgkmcnt(6)
	v_add_co_u32 v20, s16, v20, v22
	v_add_co_ci_u32_e64 v21, null, v21, v23, s16
	s_waitcnt vmcnt(4) lgkmcnt(4)
	v_add_co_u32 v22, s16, v26, v24
	v_add_co_ci_u32_e64 v23, null, v27, v25, s16
	;; [unrolled: 3-line block ×4, first 2 shown]
	v_sub_co_u32 v35, s19, 0, v24
	v_cmp_gt_i64_e64 s16, 0, v[20:21]
	v_sub_co_ci_u32_e64 v36, null, 0, v25, s19
	v_cmp_gt_i64_e64 s19, 0, v[26:27]
	v_sub_co_u32 v37, s20, 0, v26
	v_sub_co_u32 v2, s17, 0, v20
	v_sub_co_ci_u32_e64 v38, null, 0, v27, s20
	s_and_b32 s16, s28, s16
	s_and_b32 s19, s28, s19
	v_sub_co_ci_u32_e64 v32, null, 0, v21, s17
	v_cndmask_b32_e64 v27, v27, v38, s19
	v_cndmask_b32_e64 v38, v20, v2, s16
	v_cmp_gt_i64_e64 s17, 0, v[22:23]
	v_cndmask_b32_e64 v32, v21, v32, s16
	v_sub_co_u32 v33, s18, 0, v22
	v_mul_hi_u32 v2, v38, v8
	v_sub_co_ci_u32_e64 v34, null, 0, v23, s18
	s_and_b32 s17, s28, s17
	v_cndmask_b32_e64 v37, v26, v37, s19
	v_cndmask_b32_e64 v33, v22, v33, s17
	;; [unrolled: 1-line block ×3, first 2 shown]
	v_cmp_gt_i64_e64 s18, 0, v[24:25]
	v_mad_u64_u32 v[20:21], null, v32, v8, v[2:3]
	s_and_b32 s18, s28, s18
	s_or_b32 s25, vcc_lo, s25
	v_cndmask_b32_e64 v36, v25, v36, s18
	v_mov_b32_e32 v2, v20
	v_mov_b32_e32 v48, v21
	v_cndmask_b32_e64 v35, v24, v35, s18
	v_mad_u64_u32 v[20:21], null, v38, v9, v[2:3]
	v_mad_u64_u32 v[22:23], null, v32, v9, v[48:49]
	v_mul_hi_u32 v2, v33, v8
	v_add_co_u32 v26, s20, v22, v21
	v_mad_u64_u32 v[20:21], null, v34, v8, v[2:3]
	v_add_co_ci_u32_e64 v39, null, 0, v23, s20
	v_mul_lo_u32 v53, v26, s23
	v_mad_u64_u32 v[22:23], null, v26, s22, 0
	v_mul_lo_u32 v48, v39, s22
	v_mov_b32_e32 v2, v20
	v_mov_b32_e32 v49, v21
	v_mad_u64_u32 v[20:21], null, v33, v9, v[2:3]
	v_mad_u64_u32 v[24:25], null, v34, v9, v[49:50]
	v_add3_u32 v20, v23, v53, v48
	v_sub_co_u32 v22, s20, v38, v22
	v_mul_hi_u32 v2, v35, v8
	v_sub_co_ci_u32_e64 v23, null, v32, v20, s20
	v_add_co_u32 v38, s20, v24, v21
	v_add_co_ci_u32_e64 v48, null, 0, v25, s20
	v_cmp_le_u64_e64 s20, s[22:23], v[22:23]
	v_mad_u64_u32 v[20:21], null, v36, v8, v[2:3]
	v_mul_lo_u32 v24, v48, s22
	v_mul_lo_u32 v25, v38, s23
	v_mad_u64_u32 v[22:23], null, v38, s22, 0
	v_cndmask_b32_e64 v2, 0, 1, s20
	v_mov_b32_e32 v50, v21
	v_add_co_u32 v26, s20, v26, v2
	v_add_co_ci_u32_e64 v32, null, 0, v39, s20
	v_mov_b32_e32 v2, v20
	v_sub_co_u32 v39, s20, 0, v26
	v_sub_co_ci_u32_e64 v49, null, 0, v32, s20
	v_add3_u32 v53, v23, v25, v24
	v_mad_u64_u32 v[20:21], null, v35, v9, v[2:3]
	v_mad_u64_u32 v[23:24], null, v36, v9, v[50:51]
	v_sub_co_u32 v25, s20, v33, v22
	v_cndmask_b32_e64 v33, v32, v49, s16
	v_cndmask_b32_e64 v32, v26, v39, s16
	v_sub_co_ci_u32_e64 v26, null, v34, v53, s20
	v_mul_hi_u32 v2, v37, v8
	v_add_co_u32 v34, s16, v23, v21
	v_add_co_ci_u32_e64 v39, null, 0, v24, s16
	v_cmp_le_u64_e64 s16, s[22:23], v[25:26]
	v_mul_lo_u32 v25, v34, s23
	v_mad_u64_u32 v[22:23], null, v34, s22, 0
	v_mad_u64_u32 v[20:21], null, v27, v8, v[2:3]
	v_cndmask_b32_e64 v2, 0, 1, s16
	v_mul_lo_u32 v24, v39, s22
	flat_store_dwordx2 v[14:15], v[32:33] glc slc
	v_add_co_u32 v26, s16, v38, v2
	v_add_co_ci_u32_e64 v32, null, 0, v48, s16
	v_mov_b32_e32 v2, v20
	v_mov_b32_e32 v51, v21
	v_sub_co_u32 v38, s16, 0, v26
	v_sub_co_ci_u32_e64 v33, null, 0, v32, s16
	v_add3_u32 v48, v23, v25, v24
	v_mad_u64_u32 v[20:21], null, v37, v9, v[2:3]
	v_mad_u64_u32 v[23:24], null, v27, v9, v[51:52]
	v_sub_co_u32 v25, s16, v35, v22
	v_cndmask_b32_e64 v33, v32, v33, s17
	v_cndmask_b32_e64 v32, v26, v38, s17
	v_sub_co_ci_u32_e64 v26, null, v36, v48, s16
	v_add_co_u32 v2, s16, v23, v21
	v_add_co_ci_u32_e64 v24, null, 0, v24, s16
	v_cmp_le_u64_e64 s16, s[22:23], v[25:26]
	v_mul_lo_u32 v25, v2, s23
	v_mad_u64_u32 v[20:21], null, v2, s22, 0
	v_mul_lo_u32 v23, v24, s22
	flat_store_dwordx2 v[14:15], v[32:33] offset:256 glc slc
	v_cndmask_b32_e64 v22, 0, 1, s16
	v_add_co_u32 v22, s16, v34, v22
	v_add_co_ci_u32_e64 v26, null, 0, v39, s16
	v_add3_u32 v21, v21, v25, v23
	v_sub_co_u32 v32, s16, 0, v22
	v_sub_co_ci_u32_e64 v33, null, 0, v26, s16
	v_sub_co_u32 v20, s16, v37, v20
	v_sub_co_ci_u32_e64 v21, null, v27, v21, s16
	v_cndmask_b32_e64 v23, v26, v33, s18
	v_cndmask_b32_e64 v22, v22, v32, s18
	v_cmp_le_u64_e64 s16, s[22:23], v[20:21]
	flat_store_dwordx2 v[14:15], v[22:23] offset:512 glc slc
	v_cndmask_b32_e64 v20, 0, 1, s16
	v_add_co_u32 v2, s16, v2, v20
	v_add_co_ci_u32_e64 v20, null, 0, v24, s16
	v_sub_co_u32 v22, s16, 0, v2
	v_sub_co_ci_u32_e64 v21, null, 0, v20, s16
	v_cndmask_b32_e64 v21, v20, v21, s19
	v_cndmask_b32_e64 v20, v2, v22, s19
	flat_store_dwordx2 v[14:15], v[20:21] offset:768 glc slc
	v_add_co_u32 v14, s16, v14, v105
	v_add_co_ci_u32_e64 v15, null, 0, v15, s16
	s_andn2_b32 exec_lo, exec_lo, s25
	s_cbranch_execnz .LBB6_665
; %bb.666:                              ;   in Loop: Header=BB6_497 Depth=2
	s_or_b32 exec_lo, exec_lo, s25
.LBB6_667:                              ;   in Loop: Header=BB6_497 Depth=2
	s_or_b32 exec_lo, exec_lo, s24
	v_lshlrev_b32_e32 v2, 10, v19
	v_cmp_ne_u32_e32 vcc_lo, v113, v2
	s_and_b32 exec_lo, exec_lo, vcc_lo
	s_cbranch_execz .LBB6_676
; %bb.668:                              ;   in Loop: Header=BB6_497 Depth=2
	v_mov_b32_e32 v8, -1
	v_mov_b32_e32 v9, -1
	s_cmp_lt_i32 s26, 1
	s_cbranch_scc1 .LBB6_673
; %bb.669:                              ;   in Loop: Header=BB6_497 Depth=2
	s_cmp_lg_u32 s26, 1
	s_cbranch_scc1 .LBB6_671
; %bb.670:                              ;   in Loop: Header=BB6_497 Depth=2
	s_mov_b32 s28, s27
	s_mov_b64 s[18:19], 1
	s_mov_b64 s[16:17], s[28:29]
	s_branch .LBB6_672
.LBB6_671:                              ;   in Loop: Header=BB6_497 Depth=2
	s_mov_b64 s[18:19], 3
	s_mov_b64 s[16:17], 0
.LBB6_672:                              ;   in Loop: Header=BB6_497 Depth=2
	v_cmp_lt_u64_e64 s19, s[18:19], s[22:23]
	s_or_b32 s20, s17, 2.0
	s_and_b32 s19, s19, exec_lo
	s_cselect_b32 s19, 0, s22
	s_cselect_b32 s17, s17, s20
	s_sub_i32 s18, s18, s19
	s_or_b32 s19, s17, 0x20000000
	s_lshl_b32 s18, s18, 1
	s_or_b32 s26, s18, 1
	v_cmp_lt_u64_e64 s18, s[26:27], s[22:23]
	s_and_b32 s18, s18, exec_lo
	s_cselect_b32 s18, 0, s22
	s_cselect_b32 s17, s17, s19
	s_cselect_b32 s19, 0, s23
	s_sub_u32 s18, s26, s18
	s_subb_u32 s19, 0, s19
	s_or_b32 s24, s17, 0x10000000
	s_lshl_b64 s[18:19], s[18:19], 1
	s_or_b32 s18, s18, 1
	v_cmp_lt_u64_e64 s20, s[18:19], s[22:23]
	s_and_b32 s20, s20, exec_lo
	s_cselect_b32 s20, 0, s22
	s_cselect_b32 s17, s17, s24
	s_cselect_b32 s24, 0, s23
	s_sub_u32 s18, s18, s20
	s_subb_u32 s19, s19, s24
	s_or_b32 s24, s17, 0x8000000
	s_lshl_b64 s[18:19], s[18:19], 1
	;; [unrolled: 10-line block ×30, first 2 shown]
	v_mov_b32_e32 v9, s17
	s_or_b32 s18, s18, 1
	v_cmp_lt_u64_e64 s20, s[18:19], s[22:23]
	s_and_b32 s20, s20, exec_lo
	s_cselect_b32 s20, 0, s22
	s_cselect_b32 s16, s16, s24
	;; [unrolled: 1-line block ×3, first 2 shown]
	s_sub_u32 s18, s18, s20
	s_subb_u32 s19, s19, s24
	s_or_b32 s24, s16, 2.0
	s_lshl_b64 s[18:19], s[18:19], 1
	s_or_b32 s18, s18, 1
	v_cmp_lt_u64_e64 s20, s[18:19], s[22:23]
	s_and_b32 s20, s20, exec_lo
	s_cselect_b32 s20, 0, s22
	s_cselect_b32 s16, s16, s24
	s_cselect_b32 s24, 0, s23
	s_sub_u32 s18, s18, s20
	s_subb_u32 s19, s19, s24
	s_or_b32 s24, s16, 0x20000000
	s_lshl_b64 s[18:19], s[18:19], 1
	s_or_b32 s18, s18, 1
	v_cmp_lt_u64_e64 s20, s[18:19], s[22:23]
	s_and_b32 s20, s20, exec_lo
	s_cselect_b32 s20, 0, s22
	s_cselect_b32 s16, s16, s24
	s_cselect_b32 s24, 0, s23
	s_sub_u32 s18, s18, s20
	s_subb_u32 s19, s19, s24
	s_or_b32 s24, s16, 0x10000000
	;; [unrolled: 10-line block ×29, first 2 shown]
	s_lshl_b64 s[18:19], s[18:19], 1
	s_or_b32 s18, s18, 1
	v_cmp_lt_u64_e64 s20, s[18:19], s[22:23]
	s_and_b32 s20, s20, exec_lo
	s_cselect_b32 s20, 0, s22
	s_cselect_b32 s16, s16, s24
	;; [unrolled: 1-line block ×3, first 2 shown]
	s_sub_u32 s18, s18, s20
	s_subb_u32 s19, s19, s24
	s_lshl_b64 s[18:19], s[18:19], 1
	s_or_b32 s18, s18, 1
	v_cmp_ge_u64_e64 s18, s[18:19], s[22:23]
	v_cndmask_b32_e64 v8, 0, 1, s18
	v_or_b32_e32 v8, s16, v8
.LBB6_673:                              ;   in Loop: Header=BB6_497 Depth=2
	v_lshlrev_b32_e32 v10, 5, v18
	v_sub_nc_u32_e32 v10, v17, v10
	v_ashrrev_i32_e32 v11, 31, v10
	v_lshrrev_b32_e32 v11, 27, v11
	v_add_nc_u32_e32 v11, v10, v11
	v_and_b32_e32 v12, 0x1fffffe0, v11
	v_lshlrev_b32_e32 v11, 3, v11
	v_sub_nc_u32_e32 v10, v10, v12
	v_and_b32_e32 v11, 0xffffff00, v11
	v_lshl_add_u32 v10, v10, 3, v11
	v_add_nc_u32_e32 v11, v2, v10
	v_sub_nc_u32_e32 v17, v113, v11
	v_cmp_lt_i32_e32 vcc_lo, 7, v17
	s_and_b32 exec_lo, exec_lo, vcc_lo
	s_cbranch_execz .LBB6_676
; %bb.674:                              ;   in Loop: Header=BB6_497 Depth=2
	s_trap 2
	ds_read_b64 v[12:13], v0
	v_add3_u32 v2, v2, v16, v10
	s_cmp_lt_i32 s88, 0
	s_mov_b32 s18, 0
	s_cselect_b32 s19, -1, 0
	v_ashrrev_i32_e32 v15, 31, v2
	v_add_co_u32 v10, vcc_lo, v2, v116
	v_add_co_ci_u32_e64 v11, null, v15, v117, vcc_lo
	s_waitcnt lgkmcnt(0)
	v_add_co_u32 v12, vcc_lo, v12, v2
	v_add_co_ci_u32_e64 v13, null, v13, v15, vcc_lo
	v_add_co_u32 v14, vcc_lo, v2, v118
	v_add_co_ci_u32_e64 v15, null, v15, v119, vcc_lo
.LBB6_675:                              ;   Parent Loop BB6_47 Depth=1
                                        ;     Parent Loop BB6_497 Depth=2
                                        ; =>    This Inner Loop Header: Depth=3
	flat_load_dwordx2 v[18:19], v[10:11] slc
	flat_load_dwordx2 v[20:21], v[12:13] slc
	v_mov_b32_e32 v22, v3
	v_sub_nc_u32_e32 v17, v17, v106
	v_add_co_u32 v10, vcc_lo, v10, v106
	v_add_co_ci_u32_e64 v11, null, 0, v11, vcc_lo
	v_add_co_u32 v12, vcc_lo, v12, v106
	v_add_co_ci_u32_e64 v13, null, 0, v13, vcc_lo
	v_cmp_gt_i32_e32 vcc_lo, 8, v17
	s_waitcnt vmcnt(0) lgkmcnt(0)
	v_add_co_u32 v18, s16, v20, v18
	v_add_co_ci_u32_e64 v19, null, v21, v19, s16
	v_sub_co_u32 v2, s17, 0, v18
	v_cmp_gt_i64_e64 s16, 0, v[18:19]
	v_sub_co_ci_u32_e64 v16, null, 0, v19, s17
	s_and_b32 s16, s19, s16
	s_or_b32 s18, vcc_lo, s18
	v_cndmask_b32_e64 v23, v18, v2, s16
	v_cndmask_b32_e64 v16, v19, v16, s16
	v_mul_hi_u32 v2, v23, v8
	v_mad_u64_u32 v[18:19], null, v16, v8, v[2:3]
	v_mov_b32_e32 v2, v18
	v_mov_b32_e32 v21, v19
	v_mad_u64_u32 v[18:19], null, v23, v9, v[2:3]
	v_mad_u64_u32 v[20:21], null, v16, v9, v[21:22]
	v_add_co_u32 v2, s17, v20, v19
	v_add_co_ci_u32_e64 v20, null, 0, v21, s17
	v_mul_lo_u32 v22, v2, s23
	v_mad_u64_u32 v[18:19], null, v2, s22, 0
	v_mul_lo_u32 v21, v20, s22
	v_sub_co_u32 v18, s17, v23, v18
	v_add3_u32 v19, v19, v22, v21
	v_sub_co_ci_u32_e64 v19, null, v16, v19, s17
	v_cmp_le_u64_e64 s17, s[22:23], v[18:19]
	v_cndmask_b32_e64 v16, 0, 1, s17
	v_add_co_u32 v2, s17, v2, v16
	v_add_co_ci_u32_e64 v16, null, 0, v20, s17
	v_sub_co_u32 v18, s17, 0, v2
	v_sub_co_ci_u32_e64 v19, null, 0, v16, s17
	v_cndmask_b32_e64 v18, v2, v18, s16
	v_cndmask_b32_e64 v19, v16, v19, s16
	flat_store_dwordx2 v[14:15], v[18:19] glc slc
	v_add_co_u32 v14, s16, v14, v106
	v_add_co_ci_u32_e64 v15, null, 0, v15, s16
	s_andn2_b32 exec_lo, exec_lo, s18
	s_cbranch_execnz .LBB6_675
.LBB6_676:                              ;   in Loop: Header=BB6_497 Depth=2
	s_or_b32 exec_lo, exec_lo, s21
	v_cmp_lt_i32_e64 s16, 0, v103
	s_and_saveexec_b32 s17, s6
	s_cbranch_execz .LBB6_576
.LBB6_677:                              ;   in Loop: Header=BB6_497 Depth=2
	s_and_saveexec_b32 s18, s46
	s_xor_b32 s18, exec_lo, s18
	s_cbranch_execz .LBB6_692
; %bb.678:                              ;   in Loop: Header=BB6_497 Depth=2
	s_and_saveexec_b32 s19, s11
	s_cbranch_execz .LBB6_691
; %bb.679:                              ;   in Loop: Header=BB6_497 Depth=2
	s_mov_b32 s21, exec_lo
	s_mov_b32 s20, exec_lo
	v_mbcnt_lo_u32_b32 v2, s21, 0
	s_waitcnt vmcnt(0) lgkmcnt(0)
	s_waitcnt_vscnt null, 0x0
	buffer_gl1_inv
	buffer_gl0_inv
	v_cmpx_eq_u32_e32 0, v2
	s_cbranch_execz .LBB6_681
; %bb.680:                              ;   in Loop: Header=BB6_497 Depth=2
	s_bcnt1_i32_b32 s21, s21
	v_mov_b32_e32 v2, s21
	ds_add_u64 v0, v[2:3]
	s_trap 2
.LBB6_681:                              ;   in Loop: Header=BB6_497 Depth=2
	s_or_b32 exec_lo, exec_lo, s20
	s_trap 2
	ds_read_b64 v[8:9], v0
	s_waitcnt lgkmcnt(0)
	buffer_gl0_inv
	v_add_co_u32 v70, vcc_lo, v70, v89
	v_add_co_ci_u32_e64 v71, null, 0, v71, vcc_lo
	s_mov_b32 s20, exec_lo
	v_cmpx_lt_u64_e64 v[8:9], v[70:71]
	s_cbranch_execz .LBB6_690
; %bb.682:                              ;   in Loop: Header=BB6_497 Depth=2
	s_mov_b32 s21, 0
	s_mov_b32 s24, 0
                                        ; implicit-def: $sgpr22
                                        ; implicit-def: $sgpr23
	s_inst_prefetch 0x1
	s_branch .LBB6_684
	.p2align	6
.LBB6_683:                              ;   in Loop: Header=BB6_684 Depth=3
	s_or_b32 exec_lo, exec_lo, s26
	s_and_b32 s25, exec_lo, s28
	s_or_b32 s21, s25, s21
	s_andn2_b32 s22, s22, exec_lo
	s_and_b32 s25, s23, exec_lo
	s_or_b32 s22, s22, s25
	s_andn2_b32 exec_lo, exec_lo, s21
	s_cbranch_execz .LBB6_688
.LBB6_684:                              ;   Parent Loop BB6_47 Depth=1
                                        ;     Parent Loop BB6_497 Depth=2
                                        ; =>    This Inner Loop Header: Depth=3
	s_add_i32 s24, s24, 1
	s_cmpk_lg_i32 s24, 0x2710
	s_cselect_b32 s25, -1, 0
	s_and_b32 vcc_lo, exec_lo, s25
	s_cbranch_vccz .LBB6_686
; %bb.685:                              ;   in Loop: Header=BB6_684 Depth=3
	s_mov_b32 s28, -1
	s_or_b32 s23, s23, exec_lo
	s_and_saveexec_b32 s26, s25
	s_cbranch_execz .LBB6_683
	s_branch .LBB6_687
	.p2align	6
.LBB6_686:                              ;   in Loop: Header=BB6_684 Depth=3
	s_trap 2
	ds_read_b64 v[8:9], v0
	s_andn2_b32 s25, s25, exec_lo
	s_mov_b32 s24, 0
	s_waitcnt lgkmcnt(0)
	flat_load_dword v2, v[8:9] glc dlc
	s_waitcnt vmcnt(0) lgkmcnt(0)
	buffer_gl1_inv
	buffer_gl0_inv
	v_cmp_eq_u32_e32 vcc_lo, 0, v2
	s_and_b32 s26, vcc_lo, exec_lo
	s_or_b32 s25, s25, s26
	s_mov_b32 s28, -1
	s_or_b32 s23, s23, exec_lo
	s_and_saveexec_b32 s26, s25
	s_cbranch_execz .LBB6_683
.LBB6_687:                              ;   in Loop: Header=BB6_684 Depth=3
	s_sleep 1
	s_trap 2
	ds_read_b64 v[8:9], v0
	s_waitcnt lgkmcnt(0)
	buffer_gl0_inv
	s_andn2_b32 s23, s23, exec_lo
	v_cmp_ge_u64_e32 vcc_lo, v[8:9], v[70:71]
	s_orn2_b32 s28, vcc_lo, exec_lo
	s_branch .LBB6_683
.LBB6_688:                              ;   in Loop: Header=BB6_497 Depth=2
	s_inst_prefetch 0x2
	s_or_b32 exec_lo, exec_lo, s21
	s_and_saveexec_b32 s21, s22
	s_xor_b32 s21, exec_lo, s21
	s_cbranch_execz .LBB6_690
; %bb.689:                              ;   in Loop: Header=BB6_497 Depth=2
	ds_write_b32 v0, v92
	s_trap 2
.LBB6_690:                              ;   in Loop: Header=BB6_497 Depth=2
	s_or_b32 exec_lo, exec_lo, s20
	;;#ASMSTART
	s_wakeup
	;;#ASMEND
.LBB6_691:                              ;   in Loop: Header=BB6_497 Depth=2
	s_or_b32 exec_lo, exec_lo, s19
.LBB6_692:                              ;   in Loop: Header=BB6_497 Depth=2
	s_andn2_saveexec_b32 s18, s18
	s_cbranch_execz .LBB6_694
; %bb.693:                              ;   in Loop: Header=BB6_497 Depth=2
	s_waitcnt vmcnt(0) lgkmcnt(0)
	s_waitcnt_vscnt null, 0x0
	buffer_gl1_inv
	buffer_gl0_inv
	s_barrier
.LBB6_694:                              ;   in Loop: Header=BB6_497 Depth=2
	s_or_b32 exec_lo, exec_lo, s18
	s_or_b32 exec_lo, exec_lo, s17
                                        ; implicit-def: $vgpr2
	s_and_saveexec_b32 s17, s15
	s_xor_b32 s17, exec_lo, s17
	s_cbranch_execnz .LBB6_577
.LBB6_695:                              ;   in Loop: Header=BB6_497 Depth=2
	s_andn2_saveexec_b32 s16, s17
	s_cbranch_execz .LBB6_714
.LBB6_696:                              ;   in Loop: Header=BB6_497 Depth=2
	s_and_saveexec_b32 s17, s46
	s_xor_b32 s17, exec_lo, s17
	s_cbranch_execz .LBB6_711
; %bb.697:                              ;   in Loop: Header=BB6_497 Depth=2
	s_and_saveexec_b32 s18, s11
	s_cbranch_execz .LBB6_710
; %bb.698:                              ;   in Loop: Header=BB6_497 Depth=2
	s_mov_b32 s20, exec_lo
	s_mov_b32 s19, exec_lo
	v_mbcnt_lo_u32_b32 v2, s20, 0
	;;#ASMSTART
	s_waitcnt lgkmcnt(0) vmcnt(0)
	;;#ASMEND
	v_cmpx_eq_u32_e32 0, v2
	s_cbranch_execz .LBB6_700
; %bb.699:                              ;   in Loop: Header=BB6_497 Depth=2
	s_bcnt1_i32_b32 s20, s20
	v_mov_b32_e32 v2, s20
	s_waitcnt vmcnt(0) lgkmcnt(0)
	s_waitcnt_vscnt null, 0x0
	ds_add_u64 v0, v[2:3]
	s_trap 2
.LBB6_700:                              ;   in Loop: Header=BB6_497 Depth=2
	s_or_b32 exec_lo, exec_lo, s19
	s_trap 2
	ds_read_b64 v[8:9], v0
	s_waitcnt vmcnt(0) lgkmcnt(0)
	buffer_gl0_inv
	v_add_co_u32 v70, vcc_lo, v70, v89
	v_add_co_ci_u32_e64 v71, null, 0, v71, vcc_lo
	s_mov_b32 s19, exec_lo
	v_cmpx_lt_u64_e64 v[8:9], v[70:71]
	s_cbranch_execz .LBB6_709
; %bb.701:                              ;   in Loop: Header=BB6_497 Depth=2
	s_mov_b32 s20, 0
	s_mov_b32 s23, 0
                                        ; implicit-def: $sgpr21
                                        ; implicit-def: $sgpr22
	s_inst_prefetch 0x1
	s_branch .LBB6_703
	.p2align	6
.LBB6_702:                              ;   in Loop: Header=BB6_703 Depth=3
	s_or_b32 exec_lo, exec_lo, s25
	s_and_b32 s24, exec_lo, s26
	s_or_b32 s20, s24, s20
	s_andn2_b32 s21, s21, exec_lo
	s_and_b32 s24, s22, exec_lo
	s_or_b32 s21, s21, s24
	s_andn2_b32 exec_lo, exec_lo, s20
	s_cbranch_execz .LBB6_707
.LBB6_703:                              ;   Parent Loop BB6_47 Depth=1
                                        ;     Parent Loop BB6_497 Depth=2
                                        ; =>    This Inner Loop Header: Depth=3
	s_add_i32 s23, s23, 1
	s_cmpk_lg_i32 s23, 0x2710
	s_cselect_b32 s24, -1, 0
	s_and_b32 vcc_lo, exec_lo, s24
	s_cbranch_vccz .LBB6_705
; %bb.704:                              ;   in Loop: Header=BB6_703 Depth=3
	s_mov_b32 s26, -1
	s_or_b32 s22, s22, exec_lo
	s_and_saveexec_b32 s25, s24
	s_cbranch_execz .LBB6_702
	s_branch .LBB6_706
	.p2align	6
.LBB6_705:                              ;   in Loop: Header=BB6_703 Depth=3
	s_trap 2
	ds_read_b64 v[8:9], v0
	s_andn2_b32 s24, s24, exec_lo
	s_mov_b32 s23, 0
	s_waitcnt lgkmcnt(0)
	s_waitcnt_vscnt null, 0x0
	flat_load_dword v2, v[8:9] glc dlc
	s_waitcnt vmcnt(0) lgkmcnt(0)
	buffer_gl1_inv
	buffer_gl0_inv
	v_cmp_eq_u32_e32 vcc_lo, 0, v2
	s_and_b32 s25, vcc_lo, exec_lo
	s_or_b32 s24, s24, s25
	s_mov_b32 s26, -1
	s_or_b32 s22, s22, exec_lo
	s_and_saveexec_b32 s25, s24
	s_cbranch_execz .LBB6_702
.LBB6_706:                              ;   in Loop: Header=BB6_703 Depth=3
	s_sleep 1
	s_trap 2
	ds_read_b64 v[8:9], v0
	s_waitcnt lgkmcnt(0)
	buffer_gl0_inv
	s_andn2_b32 s22, s22, exec_lo
	v_cmp_ge_u64_e32 vcc_lo, v[8:9], v[70:71]
	s_orn2_b32 s26, vcc_lo, exec_lo
	s_branch .LBB6_702
.LBB6_707:                              ;   in Loop: Header=BB6_497 Depth=2
	s_inst_prefetch 0x2
	s_or_b32 exec_lo, exec_lo, s20
	s_and_saveexec_b32 s20, s21
	s_xor_b32 s20, exec_lo, s20
	s_cbranch_execz .LBB6_709
; %bb.708:                              ;   in Loop: Header=BB6_497 Depth=2
	ds_write_b32 v0, v92
	s_trap 2
.LBB6_709:                              ;   in Loop: Header=BB6_497 Depth=2
	s_or_b32 exec_lo, exec_lo, s19
	;;#ASMSTART
	s_wakeup
	;;#ASMEND
.LBB6_710:                              ;   in Loop: Header=BB6_497 Depth=2
	s_or_b32 exec_lo, exec_lo, s18
.LBB6_711:                              ;   in Loop: Header=BB6_497 Depth=2
	s_andn2_saveexec_b32 s17, s17
	s_cbranch_execz .LBB6_713
; %bb.712:                              ;   in Loop: Header=BB6_497 Depth=2
	;;#ASMSTART
	s_waitcnt lgkmcnt(0) vmcnt(0)
	;;#ASMEND
	s_barrier
.LBB6_713:                              ;   in Loop: Header=BB6_497 Depth=2
	s_or_b32 exec_lo, exec_lo, s17
	v_and_b32_e32 v2, 16, v78
.LBB6_714:                              ;   in Loop: Header=BB6_497 Depth=2
	s_or_b32 exec_lo, exec_lo, s16
	v_cmp_ne_u32_e32 vcc_lo, 0, v2
	s_xor_b32 s16, s7, -1
	s_and_b32 s17, vcc_lo, s16
	s_and_saveexec_b32 s16, s17
	s_cbranch_execz .LBB6_716
; %bb.715:                              ;   in Loop: Header=BB6_497 Depth=2
	s_waitcnt vmcnt(0) lgkmcnt(0)
	s_waitcnt_vscnt null, 0x0
	flat_store_dword v[68:69], v92
.LBB6_716:                              ;   in Loop: Header=BB6_497 Depth=2
	s_or_b32 exec_lo, exec_lo, s16
	v_and_b32_e32 v2, 48, v78
	s_mov_b32 s16, exec_lo
	v_cmpx_ne_u32_e32 0, v2
	s_cbranch_execz .LBB6_496
; %bb.717:                              ;   in Loop: Header=BB6_497 Depth=2
	v_add_co_u32 v96, vcc_lo, v96, 2
	v_add_co_ci_u32_e64 v97, null, 0, v97, vcc_lo
	s_waitcnt vmcnt(0) lgkmcnt(0)
	s_waitcnt_vscnt null, 0x0
	flat_store_dwordx2 v[64:65], v[96:97]
	s_branch .LBB6_496
.LBB6_718:                              ;   in Loop: Header=BB6_47 Depth=1
	s_or_b32 exec_lo, exec_lo, s77
.LBB6_719:                              ;   in Loop: Header=BB6_47 Depth=1
	s_or_b32 exec_lo, exec_lo, s41
	s_mov_b32 s17, exec_lo
	v_cmpx_gt_i32_e32 2, v2
	s_cbranch_execz .LBB6_795
; %bb.720:                              ;   in Loop: Header=BB6_47 Depth=1
	v_cmp_eq_u32_e64 s19, 0, v2
	s_mov_b32 s18, 0
	s_branch .LBB6_722
.LBB6_721:                              ;   in Loop: Header=BB6_722 Depth=2
	s_or_b32 exec_lo, exec_lo, s16
	v_add_nc_u32_e32 v112, v102, v112
	s_mov_b32 s19, 0
	s_andn2_b32 exec_lo, exec_lo, s18
	s_cbranch_execz .LBB6_794
.LBB6_722:                              ;   Parent Loop BB6_47 Depth=1
                                        ; =>  This Loop Header: Depth=2
                                        ;       Child Loop BB6_728 Depth 3
                                        ;       Child Loop BB6_756 Depth 3
	;; [unrolled: 1-line block ×3, first 2 shown]
	v_sub_nc_u32_e32 v2, v126, v112
	v_and_b32_e32 v8, 12, v78
	s_mov_b32 s20, exec_lo
	v_min_i32_e32 v102, v102, v2
	v_cmpx_ne_u32_e32 0, v8
	s_cbranch_execz .LBB6_748
; %bb.723:                              ;   in Loop: Header=BB6_722 Depth=2
	v_and_b32_e32 v2, 8, v78
	s_mov_b32 s21, exec_lo
	s_waitcnt vmcnt(0) lgkmcnt(1)
	v_add_co_u32 v10, vcc_lo, v80, v2
	v_add_co_ci_u32_e64 v11, null, 0, v81, vcc_lo
	v_add_co_u32 v8, vcc_lo, v96, 2
	v_add_co_ci_u32_e64 v9, null, 0, v97, vcc_lo
	v_cmpx_lt_u64_e64 v[10:11], v[8:9]
	s_cbranch_execz .LBB6_735
; %bb.724:                              ;   in Loop: Header=BB6_722 Depth=2
	v_and_b32_e32 v10, 64, v78
	s_mov_b32 s22, 0
	s_mov_b32 s26, 0
                                        ; implicit-def: $sgpr23
                                        ; implicit-def: $sgpr24
                                        ; implicit-def: $sgpr25
	v_cmp_eq_u32_e32 vcc_lo, 0, v10
	s_branch .LBB6_728
.LBB6_725:                              ;   in Loop: Header=BB6_728 Depth=3
	s_waitcnt vmcnt(0) lgkmcnt(0)
	v_add_co_u32 v11, s16, v80, v2
	v_add_co_ci_u32_e64 v12, null, 0, v81, s16
	s_or_b32 s77, s77, exec_lo
	v_cmp_ge_u64_e64 s16, v[11:12], v[8:9]
	s_orn2_b32 s41, s16, exec_lo
.LBB6_726:                              ;   in Loop: Header=BB6_728 Depth=3
	s_or_b32 exec_lo, exec_lo, s79
	s_andn2_b32 s16, s25, exec_lo
	s_and_b32 s25, s77, exec_lo
	s_andn2_b32 s24, s24, exec_lo
	s_and_b32 s41, s41, exec_lo
	s_or_b32 s25, s16, s25
	s_or_b32 s24, s24, s41
.LBB6_727:                              ;   in Loop: Header=BB6_728 Depth=3
	s_or_b32 exec_lo, exec_lo, s28
	s_and_b32 s16, exec_lo, s24
	s_or_b32 s22, s16, s22
	s_andn2_b32 s16, s23, exec_lo
	s_and_b32 s23, s25, exec_lo
	s_or_b32 s23, s16, s23
	s_andn2_b32 exec_lo, exec_lo, s22
	s_cbranch_execz .LBB6_732
.LBB6_728:                              ;   Parent Loop BB6_47 Depth=1
                                        ;     Parent Loop BB6_722 Depth=2
                                        ; =>    This Inner Loop Header: Depth=3
	s_sleep 1
	s_waitcnt vmcnt(0) lgkmcnt(0)
	flat_load_dwordx2 v[80:81], v[64:65] glc dlc
	s_or_b32 s25, s25, exec_lo
	s_or_b32 s24, s24, exec_lo
                                        ; implicit-def: $vgpr10
	s_and_saveexec_b32 s28, vcc_lo
	s_cbranch_execz .LBB6_727
; %bb.729:                              ;   in Loop: Header=BB6_728 Depth=3
	s_cmpk_lt_i32 s26, 0x270f
	s_mov_b32 s41, -1
	s_cselect_b32 s78, -1, 0
	s_cmpk_gt_i32 s26, 0x270e
	s_cbranch_scc0 .LBB6_731
; %bb.730:                              ;   in Loop: Header=BB6_728 Depth=3
	s_trap 2
	ds_read_b64 v[10:11], v0
	s_andn2_b32 s26, s78, exec_lo
	s_mov_b32 s77, 0
	s_waitcnt vmcnt(0) lgkmcnt(0)
	s_waitcnt_vscnt null, 0x0
	flat_load_dword v10, v[10:11] glc dlc
	s_waitcnt vmcnt(0) lgkmcnt(0)
	buffer_gl1_inv
	buffer_gl0_inv
	v_cmp_eq_u32_e64 s16, 0, v10
	s_and_b32 s16, s16, exec_lo
	s_or_b32 s78, s26, s16
	s_mov_b32 s26, 0
	s_and_saveexec_b32 s79, s78
	s_cbranch_execz .LBB6_726
	s_branch .LBB6_725
.LBB6_731:                              ;   in Loop: Header=BB6_728 Depth=3
	s_add_i32 s26, s26, 1
	s_mov_b32 s77, -1
                                        ; implicit-def: $vgpr10
	s_and_saveexec_b32 s79, s78
	s_cbranch_execz .LBB6_726
	s_branch .LBB6_725
.LBB6_732:                              ;   in Loop: Header=BB6_722 Depth=2
	s_or_b32 exec_lo, exec_lo, s22
	s_xor_b32 s16, s23, -1
	s_and_saveexec_b32 s22, s16
	s_xor_b32 s16, exec_lo, s22
	s_cbranch_execz .LBB6_734
; %bb.733:                              ;   in Loop: Header=BB6_722 Depth=2
	v_or_b32_e32 v78, 64, v78
	s_waitcnt vmcnt(0) lgkmcnt(0)
	s_waitcnt_vscnt null, 0x0
	ds_write_b32 v0, v10
	s_trap 2
.LBB6_734:                              ;   in Loop: Header=BB6_722 Depth=2
	s_or_b32 exec_lo, exec_lo, s16
.LBB6_735:                              ;   in Loop: Header=BB6_722 Depth=2
	s_or_b32 exec_lo, exec_lo, s21
	v_and_b32_e32 v10, 0x108, v78
	s_mov_b32 s16, exec_lo
	;;#ASMSTART
	s_wakeup
	;;#ASMEND
	v_cmpx_ne_u32_e32 0x108, v10
	s_xor_b32 s16, exec_lo, s16
                                        ; implicit-def: $vgpr14
; %bb.736:                              ;   in Loop: Header=BB6_722 Depth=2
	v_and_b32_e32 v14, 7, v96
                                        ; implicit-def: $vgpr96_vgpr97
; %bb.737:                              ;   in Loop: Header=BB6_722 Depth=2
	s_andn2_saveexec_b32 s16, s16
	s_cbranch_execz .LBB6_739
; %bb.738:                              ;   in Loop: Header=BB6_722 Depth=2
	v_and_b32_e32 v14, 7, v96
	v_ashrrev_i32_e32 v103, 31, v102
	v_mad_u64_u32 v[10:11], null, v14, 24, v[6:7]
	v_lshlrev_b64 v[12:13], 3, v[102:103]
	flat_store_dwordx2 v[10:11], v[12:13] offset:8
.LBB6_739:                              ;   in Loop: Header=BB6_722 Depth=2
	s_or_b32 exec_lo, exec_lo, s16
	v_and_b32_e32 v10, 0x100, v78
	s_mov_b32 s16, -1
	v_cmp_ne_u32_e32 vcc_lo, 0, v10
                                        ; implicit-def: $vgpr10_vgpr11
	s_and_saveexec_b32 s21, vcc_lo
	s_cbranch_execz .LBB6_743
; %bb.740:                              ;   in Loop: Header=BB6_722 Depth=2
	v_mad_u64_u32 v[12:13], null, v14, 24, v[6:7]
	v_mov_b32_e32 v10, v13
	v_mad_u64_u32 v[10:11], null, v3, 24, v[10:11]
	v_mov_b32_e32 v13, v10
	flat_load_dword v10, v[12:13]
	s_waitcnt vmcnt(0) lgkmcnt(0)
	v_cmp_eq_u32_e64 s16, 1, v10
	v_cmp_ne_u32_e32 vcc_lo, 1, v10
                                        ; implicit-def: $vgpr10_vgpr11
	s_and_saveexec_b32 s22, s16
	s_cbranch_execz .LBB6_742
; %bb.741:                              ;   in Loop: Header=BB6_722 Depth=2
	flat_load_dword v10, v[12:13] offset:4 glc dlc
	s_waitcnt vmcnt(0) lgkmcnt(0)
	v_ashrrev_i32_e32 v11, 31, v10
	v_lshrrev_b64 v[10:11], 3, v[10:11]
.LBB6_742:                              ;   in Loop: Header=BB6_722 Depth=2
	s_or_b32 exec_lo, exec_lo, s22
	s_orn2_b32 s16, vcc_lo, exec_lo
.LBB6_743:                              ;   in Loop: Header=BB6_722 Depth=2
	s_or_b32 exec_lo, exec_lo, s21
	s_and_saveexec_b32 s21, s16
; %bb.744:                              ;   in Loop: Header=BB6_722 Depth=2
	v_mul_lo_u32 v12, v3, v79
	v_mul_lo_u32 v13, v14, v88
	v_mad_u64_u32 v[10:11], null, v14, v79, 0
	v_add3_u32 v11, v11, v13, v12
; %bb.745:                              ;   in Loop: Header=BB6_722 Depth=2
	s_or_b32 exec_lo, exec_lo, s21
	v_cmp_eq_u32_e32 vcc_lo, 0, v2
	v_lshlrev_b64 v[10:11], 3, v[10:11]
	v_and_b32_e32 v12, 0x2000, v78
	s_mov_b32 s16, exec_lo
	v_cndmask_b32_e32 v2, 0xd0, v93, vcc_lo
	v_add_co_u32 v10, vcc_lo, v66, v10
	v_add_co_ci_u32_e64 v11, null, v67, v11, vcc_lo
	v_add_nc_u32_e32 v2, v0, v2
	ds_write_b64 v2, v[10:11] offset:584
	v_cmpx_ne_u32_e32 0, v12
	s_cbranch_execz .LBB6_747
; %bb.746:                              ;   in Loop: Header=BB6_722 Depth=2
	ds_read_b64 v[10:11], v0 offset:872
	s_waitcnt lgkmcnt(0)
	v_add_co_u32 v10, vcc_lo, v10, 1
	v_add_co_ci_u32_e64 v11, null, 0, v11, vcc_lo
	ds_write_b64 v0, v[10:11] offset:872
.LBB6_747:                              ;   in Loop: Header=BB6_722 Depth=2
	s_or_b32 exec_lo, exec_lo, s16
	v_mov_b32_e32 v97, v9
	v_mov_b32_e32 v96, v8
.LBB6_748:                              ;   in Loop: Header=BB6_722 Depth=2
	s_or_b32 exec_lo, exec_lo, s20
	s_xor_b32 s16, s19, -1
	s_and_b32 s16, exec_lo, s16
	s_or_b32 s18, s16, s18
	s_and_saveexec_b32 s16, s6
	s_cbranch_execz .LBB6_767
; %bb.749:                              ;   in Loop: Header=BB6_722 Depth=2
	s_and_saveexec_b32 s19, s46
	s_xor_b32 s19, exec_lo, s19
	s_cbranch_execz .LBB6_764
; %bb.750:                              ;   in Loop: Header=BB6_722 Depth=2
	s_and_saveexec_b32 s20, s11
	s_cbranch_execz .LBB6_763
; %bb.751:                              ;   in Loop: Header=BB6_722 Depth=2
	s_mov_b32 s22, exec_lo
	s_mov_b32 s21, exec_lo
	v_mbcnt_lo_u32_b32 v2, s22, 0
	s_waitcnt vmcnt(0) lgkmcnt(0)
	s_waitcnt_vscnt null, 0x0
	buffer_gl1_inv
	buffer_gl0_inv
	v_cmpx_eq_u32_e32 0, v2
	s_cbranch_execz .LBB6_753
; %bb.752:                              ;   in Loop: Header=BB6_722 Depth=2
	s_bcnt1_i32_b32 s22, s22
	v_mov_b32_e32 v2, s22
	ds_add_u64 v0, v[2:3]
	s_trap 2
.LBB6_753:                              ;   in Loop: Header=BB6_722 Depth=2
	s_or_b32 exec_lo, exec_lo, s21
	s_trap 2
	ds_read_b64 v[8:9], v0
	s_waitcnt lgkmcnt(0)
	buffer_gl0_inv
	v_add_co_u32 v70, vcc_lo, v70, v89
	v_add_co_ci_u32_e64 v71, null, 0, v71, vcc_lo
	s_mov_b32 s21, exec_lo
	v_cmpx_lt_u64_e64 v[8:9], v[70:71]
	s_cbranch_execz .LBB6_762
; %bb.754:                              ;   in Loop: Header=BB6_722 Depth=2
	s_mov_b32 s22, 0
	s_mov_b32 s25, 0
                                        ; implicit-def: $sgpr23
                                        ; implicit-def: $sgpr24
	s_inst_prefetch 0x1
	s_branch .LBB6_756
	.p2align	6
.LBB6_755:                              ;   in Loop: Header=BB6_756 Depth=3
	s_or_b32 exec_lo, exec_lo, s28
	s_and_b32 s26, exec_lo, s41
	s_or_b32 s22, s26, s22
	s_andn2_b32 s23, s23, exec_lo
	s_and_b32 s26, s24, exec_lo
	s_or_b32 s23, s23, s26
	s_andn2_b32 exec_lo, exec_lo, s22
	s_cbranch_execz .LBB6_760
.LBB6_756:                              ;   Parent Loop BB6_47 Depth=1
                                        ;     Parent Loop BB6_722 Depth=2
                                        ; =>    This Inner Loop Header: Depth=3
	s_add_i32 s25, s25, 1
	s_cmpk_lg_i32 s25, 0x2710
	s_cselect_b32 s26, -1, 0
	s_and_b32 vcc_lo, exec_lo, s26
	s_cbranch_vccz .LBB6_758
; %bb.757:                              ;   in Loop: Header=BB6_756 Depth=3
	s_mov_b32 s41, -1
	s_or_b32 s24, s24, exec_lo
	s_and_saveexec_b32 s28, s26
	s_cbranch_execz .LBB6_755
	s_branch .LBB6_759
	.p2align	6
.LBB6_758:                              ;   in Loop: Header=BB6_756 Depth=3
	s_trap 2
	ds_read_b64 v[8:9], v0
	s_andn2_b32 s26, s26, exec_lo
	s_mov_b32 s25, 0
	s_waitcnt lgkmcnt(0)
	flat_load_dword v2, v[8:9] glc dlc
	s_waitcnt vmcnt(0) lgkmcnt(0)
	buffer_gl1_inv
	buffer_gl0_inv
	v_cmp_eq_u32_e32 vcc_lo, 0, v2
	s_and_b32 s28, vcc_lo, exec_lo
	s_or_b32 s26, s26, s28
	s_mov_b32 s41, -1
	s_or_b32 s24, s24, exec_lo
	s_and_saveexec_b32 s28, s26
	s_cbranch_execz .LBB6_755
.LBB6_759:                              ;   in Loop: Header=BB6_756 Depth=3
	s_sleep 1
	s_trap 2
	ds_read_b64 v[8:9], v0
	s_waitcnt lgkmcnt(0)
	buffer_gl0_inv
	s_andn2_b32 s24, s24, exec_lo
	v_cmp_ge_u64_e32 vcc_lo, v[8:9], v[70:71]
	s_orn2_b32 s41, vcc_lo, exec_lo
	s_branch .LBB6_755
.LBB6_760:                              ;   in Loop: Header=BB6_722 Depth=2
	s_inst_prefetch 0x2
	s_or_b32 exec_lo, exec_lo, s22
	s_and_saveexec_b32 s22, s23
	s_xor_b32 s22, exec_lo, s22
	s_cbranch_execz .LBB6_762
; %bb.761:                              ;   in Loop: Header=BB6_722 Depth=2
	ds_write_b32 v0, v92
	s_trap 2
.LBB6_762:                              ;   in Loop: Header=BB6_722 Depth=2
	s_or_b32 exec_lo, exec_lo, s21
	;;#ASMSTART
	s_wakeup
	;;#ASMEND
.LBB6_763:                              ;   in Loop: Header=BB6_722 Depth=2
	s_or_b32 exec_lo, exec_lo, s20
.LBB6_764:                              ;   in Loop: Header=BB6_722 Depth=2
	s_andn2_saveexec_b32 s19, s19
	s_cbranch_execz .LBB6_766
; %bb.765:                              ;   in Loop: Header=BB6_722 Depth=2
	s_waitcnt vmcnt(0) lgkmcnt(0)
	s_waitcnt_vscnt null, 0x0
	buffer_gl1_inv
	buffer_gl0_inv
	s_barrier
.LBB6_766:                              ;   in Loop: Header=BB6_722 Depth=2
	s_or_b32 exec_lo, exec_lo, s19
.LBB6_767:                              ;   in Loop: Header=BB6_722 Depth=2
	s_or_b32 exec_lo, exec_lo, s16
                                        ; implicit-def: $vgpr2
	s_and_saveexec_b32 s16, s15
	s_xor_b32 s19, exec_lo, s16
	s_cbranch_execz .LBB6_771
; %bb.768:                              ;   in Loop: Header=BB6_722 Depth=2
	s_trap 2
	ds_read_b32 v2, v0
	v_cmp_lt_i32_e32 vcc_lo, 0, v102
	s_waitcnt lgkmcnt(0)
	v_readfirstlane_b32 s16, v2
	v_and_b32_e32 v2, 16, v78
	s_cmp_eq_u32 s16, 0
	v_cmp_ne_u32_e64 s16, 0, v2
	s_cselect_b32 s20, -1, 0
	v_and_b32_e32 v2, 16, v78
	s_and_b32 s20, vcc_lo, s20
	s_and_b32 s20, s16, s20
	s_and_saveexec_b32 s16, s20
	s_cbranch_execz .LBB6_770
; %bb.769:                              ;   in Loop: Header=BB6_722 Depth=2
	v_mov_b32_e32 v2, 1
	s_waitcnt vmcnt(0)
	s_waitcnt_vscnt null, 0x0
	buffer_gl1_inv
	buffer_gl0_inv
.LBB6_770:                              ;   in Loop: Header=BB6_722 Depth=2
	s_or_b32 exec_lo, exec_lo, s16
	s_andn2_saveexec_b32 s16, s19
	s_cbranch_execz .LBB6_790
	s_branch .LBB6_772
.LBB6_771:                              ;   in Loop: Header=BB6_722 Depth=2
	s_andn2_saveexec_b32 s16, s19
	s_cbranch_execz .LBB6_790
.LBB6_772:                              ;   in Loop: Header=BB6_722 Depth=2
	s_and_saveexec_b32 s19, s46
	s_xor_b32 s19, exec_lo, s19
	s_cbranch_execz .LBB6_787
; %bb.773:                              ;   in Loop: Header=BB6_722 Depth=2
	s_and_saveexec_b32 s20, s11
	s_cbranch_execz .LBB6_786
; %bb.774:                              ;   in Loop: Header=BB6_722 Depth=2
	s_mov_b32 s22, exec_lo
	s_mov_b32 s21, exec_lo
	v_mbcnt_lo_u32_b32 v2, s22, 0
	;;#ASMSTART
	s_waitcnt lgkmcnt(0) vmcnt(0)
	;;#ASMEND
	v_cmpx_eq_u32_e32 0, v2
	s_cbranch_execz .LBB6_776
; %bb.775:                              ;   in Loop: Header=BB6_722 Depth=2
	s_bcnt1_i32_b32 s22, s22
	v_mov_b32_e32 v2, s22
	s_waitcnt vmcnt(0) lgkmcnt(0)
	s_waitcnt_vscnt null, 0x0
	ds_add_u64 v0, v[2:3]
	s_trap 2
.LBB6_776:                              ;   in Loop: Header=BB6_722 Depth=2
	s_or_b32 exec_lo, exec_lo, s21
	s_trap 2
	ds_read_b64 v[8:9], v0
	s_waitcnt vmcnt(0) lgkmcnt(0)
	buffer_gl0_inv
	v_add_co_u32 v70, vcc_lo, v70, v89
	v_add_co_ci_u32_e64 v71, null, 0, v71, vcc_lo
	s_mov_b32 s21, exec_lo
	v_cmpx_lt_u64_e64 v[8:9], v[70:71]
	s_cbranch_execz .LBB6_785
; %bb.777:                              ;   in Loop: Header=BB6_722 Depth=2
	s_mov_b32 s22, 0
	s_mov_b32 s25, 0
                                        ; implicit-def: $sgpr23
                                        ; implicit-def: $sgpr24
	s_inst_prefetch 0x1
	s_branch .LBB6_779
	.p2align	6
.LBB6_778:                              ;   in Loop: Header=BB6_779 Depth=3
	s_or_b32 exec_lo, exec_lo, s28
	s_and_b32 s26, exec_lo, s41
	s_or_b32 s22, s26, s22
	s_andn2_b32 s23, s23, exec_lo
	s_and_b32 s26, s24, exec_lo
	s_or_b32 s23, s23, s26
	s_andn2_b32 exec_lo, exec_lo, s22
	s_cbranch_execz .LBB6_783
.LBB6_779:                              ;   Parent Loop BB6_47 Depth=1
                                        ;     Parent Loop BB6_722 Depth=2
                                        ; =>    This Inner Loop Header: Depth=3
	s_add_i32 s25, s25, 1
	s_cmpk_lg_i32 s25, 0x2710
	s_cselect_b32 s26, -1, 0
	s_and_b32 vcc_lo, exec_lo, s26
	s_cbranch_vccz .LBB6_781
; %bb.780:                              ;   in Loop: Header=BB6_779 Depth=3
	s_mov_b32 s41, -1
	s_or_b32 s24, s24, exec_lo
	s_and_saveexec_b32 s28, s26
	s_cbranch_execz .LBB6_778
	s_branch .LBB6_782
	.p2align	6
.LBB6_781:                              ;   in Loop: Header=BB6_779 Depth=3
	s_trap 2
	ds_read_b64 v[8:9], v0
	s_andn2_b32 s26, s26, exec_lo
	s_mov_b32 s25, 0
	s_waitcnt lgkmcnt(0)
	s_waitcnt_vscnt null, 0x0
	flat_load_dword v2, v[8:9] glc dlc
	s_waitcnt vmcnt(0) lgkmcnt(0)
	buffer_gl1_inv
	buffer_gl0_inv
	v_cmp_eq_u32_e32 vcc_lo, 0, v2
	s_and_b32 s28, vcc_lo, exec_lo
	s_or_b32 s26, s26, s28
	s_mov_b32 s41, -1
	s_or_b32 s24, s24, exec_lo
	s_and_saveexec_b32 s28, s26
	s_cbranch_execz .LBB6_778
.LBB6_782:                              ;   in Loop: Header=BB6_779 Depth=3
	s_sleep 1
	s_trap 2
	ds_read_b64 v[8:9], v0
	s_waitcnt lgkmcnt(0)
	buffer_gl0_inv
	s_andn2_b32 s24, s24, exec_lo
	v_cmp_ge_u64_e32 vcc_lo, v[8:9], v[70:71]
	s_orn2_b32 s41, vcc_lo, exec_lo
	s_branch .LBB6_778
.LBB6_783:                              ;   in Loop: Header=BB6_722 Depth=2
	s_inst_prefetch 0x2
	s_or_b32 exec_lo, exec_lo, s22
	s_and_saveexec_b32 s22, s23
	s_xor_b32 s22, exec_lo, s22
	s_cbranch_execz .LBB6_785
; %bb.784:                              ;   in Loop: Header=BB6_722 Depth=2
	ds_write_b32 v0, v92
	s_trap 2
.LBB6_785:                              ;   in Loop: Header=BB6_722 Depth=2
	s_or_b32 exec_lo, exec_lo, s21
	;;#ASMSTART
	s_wakeup
	;;#ASMEND
.LBB6_786:                              ;   in Loop: Header=BB6_722 Depth=2
	s_or_b32 exec_lo, exec_lo, s20
.LBB6_787:                              ;   in Loop: Header=BB6_722 Depth=2
	s_andn2_saveexec_b32 s19, s19
	s_cbranch_execz .LBB6_789
; %bb.788:                              ;   in Loop: Header=BB6_722 Depth=2
	;;#ASMSTART
	s_waitcnt lgkmcnt(0) vmcnt(0)
	;;#ASMEND
	s_barrier
.LBB6_789:                              ;   in Loop: Header=BB6_722 Depth=2
	s_or_b32 exec_lo, exec_lo, s19
	v_and_b32_e32 v2, 16, v78
.LBB6_790:                              ;   in Loop: Header=BB6_722 Depth=2
	s_or_b32 exec_lo, exec_lo, s16
	v_cmp_ne_u32_e32 vcc_lo, 0, v2
	s_xor_b32 s16, s7, -1
	s_and_b32 s19, vcc_lo, s16
	s_and_saveexec_b32 s16, s19
	s_cbranch_execz .LBB6_792
; %bb.791:                              ;   in Loop: Header=BB6_722 Depth=2
	s_waitcnt vmcnt(0) lgkmcnt(0)
	s_waitcnt_vscnt null, 0x0
	flat_store_dword v[68:69], v92
.LBB6_792:                              ;   in Loop: Header=BB6_722 Depth=2
	s_or_b32 exec_lo, exec_lo, s16
	v_and_b32_e32 v2, 48, v78
	s_mov_b32 s16, exec_lo
	v_cmpx_ne_u32_e32 0, v2
	s_cbranch_execz .LBB6_721
; %bb.793:                              ;   in Loop: Header=BB6_722 Depth=2
	v_add_co_u32 v96, vcc_lo, v96, 2
	v_add_co_ci_u32_e64 v97, null, 0, v97, vcc_lo
	s_waitcnt vmcnt(0) lgkmcnt(0)
	s_waitcnt_vscnt null, 0x0
	flat_store_dwordx2 v[64:65], v[96:97]
	s_branch .LBB6_721
.LBB6_794:                              ;   in Loop: Header=BB6_47 Depth=1
	s_or_b32 exec_lo, exec_lo, s18
.LBB6_795:                              ;   in Loop: Header=BB6_47 Depth=1
	s_or_b32 exec_lo, exec_lo, s17
	s_andn2_b32 vcc_lo, exec_lo, s61
	s_cbranch_vccnz .LBB6_1052
; %bb.796:                              ;   in Loop: Header=BB6_47 Depth=1
	s_mov_b32 s22, 1
.LBB6_797:                              ;   Parent Loop BB6_47 Depth=1
                                        ; =>  This Loop Header: Depth=2
                                        ;       Child Loop BB6_800 Depth 3
                                        ;         Child Loop BB6_808 Depth 4
                                        ;         Child Loop BB6_836 Depth 4
	;; [unrolled: 1-line block ×5, first 2 shown]
                                        ;           Child Loop BB6_888 Depth 5
                                        ;         Child Loop BB6_895 Depth 4
                                        ;         Child Loop BB6_900 Depth 4
                                        ;           Child Loop BB6_901 Depth 5
                                        ;         Child Loop BB6_913 Depth 4
                                        ;         Child Loop BB6_918 Depth 4
	;; [unrolled: 1-line block ×6, first 2 shown]
                                        ;       Child Loop BB6_977 Depth 3
                                        ;         Child Loop BB6_983 Depth 4
                                        ;         Child Loop BB6_1011 Depth 4
	;; [unrolled: 1-line block ×3, first 2 shown]
	s_sub_i32 s16, s57, s22
	v_mov_b32_e32 v14, 0
	s_cmp_ge_i32 s16, s43
	s_mov_b32 s24, 0
	s_cselect_b32 s17, s43, 0
	s_sub_i32 s16, s16, s17
	s_ashr_i32 s17, s16, 31
	v_mul_lo_u32 v2, v87, s16
	v_mad_u64_u32 v[8:9], null, v86, s16, 0
	v_mul_lo_u32 v10, v86, s17
	v_add3_u32 v9, v9, v10, v2
	v_sub_co_u32 v10, vcc_lo, v98, v8
	v_sub_co_ci_u32_e64 v11, null, v99, v9, vcc_lo
	v_cmp_lt_i64_e32 vcc_lo, v[86:87], v[10:11]
	v_cndmask_b32_e32 v10, v10, v86, vcc_lo
	v_max_i32_e32 v26, 0, v10
	v_cmp_lt_i32_e32 vcc_lo, 0, v10
	v_add_nc_u32_e32 v2, 31, v26
	s_and_b32 s16, s72, vcc_lo
	v_lshrrev_b32_e32 v2, 1, v2
	v_and_b32_e32 v11, 0x3ffffff0, v2
	v_mov_b32_e32 v2, 0
	v_max_i32_e32 v12, s60, v11
	s_and_saveexec_b32 s23, s16
	s_cbranch_execz .LBB6_974
; %bb.798:                              ;   in Loop: Header=BB6_797 Depth=2
	v_add_co_u32 v8, vcc_lo, v8, v100
	v_add_co_ci_u32_e64 v9, null, v9, v101, vcc_lo
	v_mov_b32_e32 v14, 0
	s_mov_b32 s26, 1
	s_mov_b32 s25, -1
	v_lshlrev_b64 v[16:17], 3, v[8:9]
	s_branch .LBB6_800
.LBB6_799:                              ;   in Loop: Header=BB6_800 Depth=3
	s_or_b32 exec_lo, exec_lo, s16
	v_add_nc_u32_e32 v14, v12, v14
	s_xor_b32 s16, s25, -1
	v_mov_b32_e32 v2, s26
	s_mov_b32 s25, 0
	s_mov_b32 s26, 2
	v_cmp_ge_i32_e32 vcc_lo, v14, v26
	s_or_b32 s16, s16, vcc_lo
	s_and_b32 s16, exec_lo, s16
	s_or_b32 s24, s16, s24
	s_andn2_b32 exec_lo, exec_lo, s24
	s_cbranch_execz .LBB6_973
.LBB6_800:                              ;   Parent Loop BB6_47 Depth=1
                                        ;     Parent Loop BB6_797 Depth=2
                                        ; =>    This Loop Header: Depth=3
                                        ;         Child Loop BB6_808 Depth 4
                                        ;         Child Loop BB6_836 Depth 4
	;; [unrolled: 1-line block ×5, first 2 shown]
                                        ;           Child Loop BB6_888 Depth 5
                                        ;         Child Loop BB6_895 Depth 4
                                        ;         Child Loop BB6_900 Depth 4
                                        ;           Child Loop BB6_901 Depth 5
                                        ;         Child Loop BB6_913 Depth 4
                                        ;         Child Loop BB6_918 Depth 4
	;; [unrolled: 1-line block ×6, first 2 shown]
	s_and_saveexec_b32 s17, s4
	s_cbranch_execz .LBB6_802
; %bb.801:                              ;   in Loop: Header=BB6_800 Depth=3
	s_trap 2
	ds_read_b128 v[8:11], v0
	v_ashrrev_i32_e32 v15, 31, v14
	v_lshlrev_b64 v[18:19], 3, v[14:15]
	s_waitcnt lgkmcnt(0)
	v_add_co_u32 v2, vcc_lo, v10, v16
	v_add_co_ci_u32_e64 v13, null, v11, v17, vcc_lo
	v_add_co_u32 v8, vcc_lo, v8, v16
	v_add_co_ci_u32_e64 v9, null, v9, v17, vcc_lo
	;; [unrolled: 2-line block ×3, first 2 shown]
	v_cmp_ne_u64_e32 vcc_lo, 0, v[10:11]
	v_add_co_u32 v8, s16, v8, v18
	v_add_co_ci_u32_e64 v9, null, v9, v19, s16
	v_cndmask_b32_e32 v11, 0, v13, vcc_lo
	v_cndmask_b32_e32 v10, 0, v2, vcc_lo
	ds_write_b64 v0, v[8:9]
	ds_write_b64 v0, v[10:11]
.LBB6_802:                              ;   in Loop: Header=BB6_800 Depth=3
	s_or_b32 exec_lo, exec_lo, s17
	v_sub_nc_u32_e32 v2, v26, v14
	v_and_b32_e32 v8, 12, v78
	s_mov_b32 s17, exec_lo
	v_min_i32_e32 v12, v12, v2
	v_cmpx_ne_u32_e32 0, v8
	s_cbranch_execz .LBB6_828
; %bb.803:                              ;   in Loop: Header=BB6_800 Depth=3
	v_and_b32_e32 v2, 8, v78
	s_mov_b32 s18, exec_lo
	s_waitcnt vmcnt(0) lgkmcnt(1)
	v_add_co_u32 v10, vcc_lo, v80, v2
	v_add_co_ci_u32_e64 v11, null, 0, v81, vcc_lo
	v_add_co_u32 v8, vcc_lo, v96, 2
	v_add_co_ci_u32_e64 v9, null, 0, v97, vcc_lo
	v_cmpx_lt_u64_e64 v[10:11], v[8:9]
	s_cbranch_execz .LBB6_815
; %bb.804:                              ;   in Loop: Header=BB6_800 Depth=3
	v_and_b32_e32 v10, 64, v78
	s_mov_b32 s19, 0
	s_mov_b32 s41, 0
                                        ; implicit-def: $sgpr20
                                        ; implicit-def: $sgpr21
                                        ; implicit-def: $sgpr28
	v_cmp_eq_u32_e32 vcc_lo, 0, v10
	s_branch .LBB6_808
.LBB6_805:                              ;   in Loop: Header=BB6_808 Depth=4
	s_waitcnt vmcnt(0) lgkmcnt(0)
	v_add_co_u32 v18, s16, v80, v2
	v_add_co_ci_u32_e64 v19, null, 0, v81, s16
	s_or_b32 s79, s79, exec_lo
	v_cmp_ge_u64_e64 s16, v[18:19], v[8:9]
	s_orn2_b32 s78, s16, exec_lo
.LBB6_806:                              ;   in Loop: Header=BB6_808 Depth=4
	s_or_b32 exec_lo, exec_lo, s89
	s_andn2_b32 s16, s28, exec_lo
	s_and_b32 s28, s79, exec_lo
	s_andn2_b32 s21, s21, exec_lo
	s_and_b32 s78, s78, exec_lo
	s_or_b32 s28, s16, s28
	s_or_b32 s21, s21, s78
.LBB6_807:                              ;   in Loop: Header=BB6_808 Depth=4
	s_or_b32 exec_lo, exec_lo, s77
	s_and_b32 s16, exec_lo, s21
	s_or_b32 s19, s16, s19
	s_andn2_b32 s16, s20, exec_lo
	s_and_b32 s20, s28, exec_lo
	s_or_b32 s20, s16, s20
	s_andn2_b32 exec_lo, exec_lo, s19
	s_cbranch_execz .LBB6_812
.LBB6_808:                              ;   Parent Loop BB6_47 Depth=1
                                        ;     Parent Loop BB6_797 Depth=2
                                        ;       Parent Loop BB6_800 Depth=3
                                        ; =>      This Inner Loop Header: Depth=4
	s_sleep 1
	s_waitcnt vmcnt(0) lgkmcnt(0)
	flat_load_dwordx2 v[80:81], v[64:65] glc dlc
	s_or_b32 s28, s28, exec_lo
	s_or_b32 s21, s21, exec_lo
                                        ; implicit-def: $vgpr10
	s_and_saveexec_b32 s77, vcc_lo
	s_cbranch_execz .LBB6_807
; %bb.809:                              ;   in Loop: Header=BB6_808 Depth=4
	s_cmpk_lt_i32 s41, 0x270f
	s_mov_b32 s78, -1
	s_cselect_b32 s88, -1, 0
	s_cmpk_gt_i32 s41, 0x270e
	s_cbranch_scc0 .LBB6_811
; %bb.810:                              ;   in Loop: Header=BB6_808 Depth=4
	s_trap 2
	ds_read_b64 v[10:11], v0
	s_andn2_b32 s41, s88, exec_lo
	s_mov_b32 s79, 0
	s_waitcnt vmcnt(0) lgkmcnt(0)
	s_waitcnt_vscnt null, 0x0
	flat_load_dword v10, v[10:11] glc dlc
	s_waitcnt vmcnt(0) lgkmcnt(0)
	buffer_gl1_inv
	buffer_gl0_inv
	v_cmp_eq_u32_e64 s16, 0, v10
	s_and_b32 s16, s16, exec_lo
	s_or_b32 s88, s41, s16
	s_mov_b32 s41, 0
	s_and_saveexec_b32 s89, s88
	s_cbranch_execz .LBB6_806
	s_branch .LBB6_805
.LBB6_811:                              ;   in Loop: Header=BB6_808 Depth=4
	s_add_i32 s41, s41, 1
	s_mov_b32 s79, -1
                                        ; implicit-def: $vgpr10
	s_and_saveexec_b32 s89, s88
	s_cbranch_execz .LBB6_806
	s_branch .LBB6_805
.LBB6_812:                              ;   in Loop: Header=BB6_800 Depth=3
	s_or_b32 exec_lo, exec_lo, s19
	s_xor_b32 s16, s20, -1
	s_and_saveexec_b32 s19, s16
	s_xor_b32 s16, exec_lo, s19
	s_cbranch_execz .LBB6_814
; %bb.813:                              ;   in Loop: Header=BB6_800 Depth=3
	v_or_b32_e32 v78, 64, v78
	s_waitcnt vmcnt(0) lgkmcnt(0)
	s_waitcnt_vscnt null, 0x0
	ds_write_b32 v0, v10
	s_trap 2
.LBB6_814:                              ;   in Loop: Header=BB6_800 Depth=3
	s_or_b32 exec_lo, exec_lo, s16
.LBB6_815:                              ;   in Loop: Header=BB6_800 Depth=3
	s_or_b32 exec_lo, exec_lo, s18
	v_and_b32_e32 v10, 0x108, v78
	s_mov_b32 s16, exec_lo
	;;#ASMSTART
	s_wakeup
	;;#ASMEND
	v_cmpx_ne_u32_e32 0x108, v10
	s_xor_b32 s16, exec_lo, s16
                                        ; implicit-def: $vgpr15
; %bb.816:                              ;   in Loop: Header=BB6_800 Depth=3
	v_and_b32_e32 v15, 7, v96
                                        ; implicit-def: $vgpr96_vgpr97
; %bb.817:                              ;   in Loop: Header=BB6_800 Depth=3
	s_andn2_saveexec_b32 s16, s16
	s_cbranch_execz .LBB6_819
; %bb.818:                              ;   in Loop: Header=BB6_800 Depth=3
	v_and_b32_e32 v15, 7, v96
	v_ashrrev_i32_e32 v13, 31, v12
	v_mad_u64_u32 v[10:11], null, v15, 24, v[6:7]
	v_lshlrev_b64 v[18:19], 3, v[12:13]
	flat_store_dwordx2 v[10:11], v[18:19] offset:8
.LBB6_819:                              ;   in Loop: Header=BB6_800 Depth=3
	s_or_b32 exec_lo, exec_lo, s16
	v_and_b32_e32 v10, 0x100, v78
	s_mov_b32 s16, -1
	v_cmp_ne_u32_e32 vcc_lo, 0, v10
                                        ; implicit-def: $vgpr10_vgpr11
	s_and_saveexec_b32 s18, vcc_lo
	s_cbranch_execz .LBB6_823
; %bb.820:                              ;   in Loop: Header=BB6_800 Depth=3
	v_mad_u64_u32 v[18:19], null, v15, 24, v[6:7]
	v_mov_b32_e32 v10, v19
	v_mad_u64_u32 v[10:11], null, v3, 24, v[10:11]
	v_mov_b32_e32 v19, v10
	flat_load_dword v10, v[18:19]
	s_waitcnt vmcnt(0) lgkmcnt(0)
	v_cmp_eq_u32_e64 s16, 1, v10
	v_cmp_ne_u32_e32 vcc_lo, 1, v10
                                        ; implicit-def: $vgpr10_vgpr11
	s_and_saveexec_b32 s19, s16
	s_cbranch_execz .LBB6_822
; %bb.821:                              ;   in Loop: Header=BB6_800 Depth=3
	flat_load_dword v10, v[18:19] offset:4 glc dlc
	s_waitcnt vmcnt(0) lgkmcnt(0)
	v_ashrrev_i32_e32 v11, 31, v10
	v_lshrrev_b64 v[10:11], 3, v[10:11]
.LBB6_822:                              ;   in Loop: Header=BB6_800 Depth=3
	s_or_b32 exec_lo, exec_lo, s19
	s_orn2_b32 s16, vcc_lo, exec_lo
.LBB6_823:                              ;   in Loop: Header=BB6_800 Depth=3
	s_or_b32 exec_lo, exec_lo, s18
	s_and_saveexec_b32 s18, s16
; %bb.824:                              ;   in Loop: Header=BB6_800 Depth=3
	v_mul_lo_u32 v13, v3, v79
	v_mul_lo_u32 v18, v15, v88
	v_mad_u64_u32 v[10:11], null, v15, v79, 0
	v_add3_u32 v11, v11, v18, v13
; %bb.825:                              ;   in Loop: Header=BB6_800 Depth=3
	s_or_b32 exec_lo, exec_lo, s18
	v_cmp_eq_u32_e32 vcc_lo, 0, v2
	v_lshlrev_b64 v[10:11], 3, v[10:11]
	v_and_b32_e32 v13, 0x2000, v78
	s_mov_b32 s16, exec_lo
	v_cndmask_b32_e32 v2, 0xd0, v94, vcc_lo
	v_add_co_u32 v10, vcc_lo, v66, v10
	v_add_co_ci_u32_e64 v11, null, v67, v11, vcc_lo
	v_add_nc_u32_e32 v2, v0, v2
	ds_write_b64 v2, v[10:11] offset:584
	v_cmpx_ne_u32_e32 0, v13
	s_cbranch_execz .LBB6_827
; %bb.826:                              ;   in Loop: Header=BB6_800 Depth=3
	ds_read_b64 v[10:11], v0 offset:872
	s_waitcnt lgkmcnt(0)
	v_add_co_u32 v10, vcc_lo, v10, 1
	v_add_co_ci_u32_e64 v11, null, 0, v11, vcc_lo
	ds_write_b64 v0, v[10:11] offset:872
.LBB6_827:                              ;   in Loop: Header=BB6_800 Depth=3
	s_or_b32 exec_lo, exec_lo, s16
	v_mov_b32_e32 v97, v9
	v_mov_b32_e32 v96, v8
.LBB6_828:                              ;   in Loop: Header=BB6_800 Depth=3
	s_or_b32 exec_lo, exec_lo, s17
	s_and_saveexec_b32 s16, s6
	s_cbranch_execz .LBB6_847
; %bb.829:                              ;   in Loop: Header=BB6_800 Depth=3
	s_and_saveexec_b32 s17, s46
	s_xor_b32 s17, exec_lo, s17
	s_cbranch_execz .LBB6_844
; %bb.830:                              ;   in Loop: Header=BB6_800 Depth=3
	s_and_saveexec_b32 s18, s11
	s_cbranch_execz .LBB6_843
; %bb.831:                              ;   in Loop: Header=BB6_800 Depth=3
	s_mov_b32 s20, exec_lo
	s_mov_b32 s19, exec_lo
	v_mbcnt_lo_u32_b32 v2, s20, 0
	s_waitcnt vmcnt(0) lgkmcnt(0)
	s_waitcnt_vscnt null, 0x0
	buffer_gl1_inv
	buffer_gl0_inv
	v_cmpx_eq_u32_e32 0, v2
	s_cbranch_execz .LBB6_833
; %bb.832:                              ;   in Loop: Header=BB6_800 Depth=3
	s_bcnt1_i32_b32 s20, s20
	v_mov_b32_e32 v2, s20
	ds_add_u64 v0, v[2:3]
	s_trap 2
.LBB6_833:                              ;   in Loop: Header=BB6_800 Depth=3
	s_or_b32 exec_lo, exec_lo, s19
	s_trap 2
	ds_read_b64 v[8:9], v0
	s_waitcnt lgkmcnt(0)
	buffer_gl0_inv
	v_add_co_u32 v70, vcc_lo, v70, v89
	v_add_co_ci_u32_e64 v71, null, 0, v71, vcc_lo
	s_mov_b32 s19, exec_lo
	v_cmpx_lt_u64_e64 v[8:9], v[70:71]
	s_cbranch_execz .LBB6_842
; %bb.834:                              ;   in Loop: Header=BB6_800 Depth=3
	s_mov_b32 s20, 0
	s_mov_b32 s41, 0
                                        ; implicit-def: $sgpr21
                                        ; implicit-def: $sgpr28
	s_inst_prefetch 0x1
	s_branch .LBB6_836
	.p2align	6
.LBB6_835:                              ;   in Loop: Header=BB6_836 Depth=4
	s_or_b32 exec_lo, exec_lo, s78
	s_and_b32 s77, exec_lo, s79
	s_or_b32 s20, s77, s20
	s_andn2_b32 s21, s21, exec_lo
	s_and_b32 s77, s28, exec_lo
	s_or_b32 s21, s21, s77
	s_andn2_b32 exec_lo, exec_lo, s20
	s_cbranch_execz .LBB6_840
.LBB6_836:                              ;   Parent Loop BB6_47 Depth=1
                                        ;     Parent Loop BB6_797 Depth=2
                                        ;       Parent Loop BB6_800 Depth=3
                                        ; =>      This Inner Loop Header: Depth=4
	s_add_i32 s41, s41, 1
	s_cmpk_lg_i32 s41, 0x2710
	s_cselect_b32 s77, -1, 0
	s_and_b32 vcc_lo, exec_lo, s77
	s_cbranch_vccz .LBB6_838
; %bb.837:                              ;   in Loop: Header=BB6_836 Depth=4
	s_mov_b32 s79, -1
	s_or_b32 s28, s28, exec_lo
	s_and_saveexec_b32 s78, s77
	s_cbranch_execz .LBB6_835
	s_branch .LBB6_839
	.p2align	6
.LBB6_838:                              ;   in Loop: Header=BB6_836 Depth=4
	s_trap 2
	ds_read_b64 v[8:9], v0
	s_andn2_b32 s77, s77, exec_lo
	s_mov_b32 s41, 0
	s_waitcnt lgkmcnt(0)
	flat_load_dword v2, v[8:9] glc dlc
	s_waitcnt vmcnt(0) lgkmcnt(0)
	buffer_gl1_inv
	buffer_gl0_inv
	v_cmp_eq_u32_e32 vcc_lo, 0, v2
	s_and_b32 s78, vcc_lo, exec_lo
	s_or_b32 s77, s77, s78
	s_mov_b32 s79, -1
	s_or_b32 s28, s28, exec_lo
	s_and_saveexec_b32 s78, s77
	s_cbranch_execz .LBB6_835
.LBB6_839:                              ;   in Loop: Header=BB6_836 Depth=4
	s_sleep 1
	s_trap 2
	ds_read_b64 v[8:9], v0
	s_waitcnt lgkmcnt(0)
	buffer_gl0_inv
	s_andn2_b32 s28, s28, exec_lo
	v_cmp_ge_u64_e32 vcc_lo, v[8:9], v[70:71]
	s_orn2_b32 s79, vcc_lo, exec_lo
	s_branch .LBB6_835
.LBB6_840:                              ;   in Loop: Header=BB6_800 Depth=3
	s_inst_prefetch 0x2
	s_or_b32 exec_lo, exec_lo, s20
	s_and_saveexec_b32 s20, s21
	s_xor_b32 s20, exec_lo, s20
	s_cbranch_execz .LBB6_842
; %bb.841:                              ;   in Loop: Header=BB6_800 Depth=3
	ds_write_b32 v0, v92
	s_trap 2
.LBB6_842:                              ;   in Loop: Header=BB6_800 Depth=3
	s_or_b32 exec_lo, exec_lo, s19
	;;#ASMSTART
	s_wakeup
	;;#ASMEND
.LBB6_843:                              ;   in Loop: Header=BB6_800 Depth=3
	s_or_b32 exec_lo, exec_lo, s18
.LBB6_844:                              ;   in Loop: Header=BB6_800 Depth=3
	s_andn2_saveexec_b32 s17, s17
	s_cbranch_execz .LBB6_846
; %bb.845:                              ;   in Loop: Header=BB6_800 Depth=3
	s_waitcnt vmcnt(0) lgkmcnt(0)
	s_waitcnt_vscnt null, 0x0
	buffer_gl1_inv
	buffer_gl0_inv
	s_barrier
.LBB6_846:                              ;   in Loop: Header=BB6_800 Depth=3
	s_or_b32 exec_lo, exec_lo, s17
.LBB6_847:                              ;   in Loop: Header=BB6_800 Depth=3
	s_or_b32 exec_lo, exec_lo, s16
	s_trap 2
	ds_read_b32 v8, v0
	v_and_b32_e32 v2, 0x4000, v78
	s_xor_b32 s16, s5, -1
	v_cmp_ne_u32_e32 vcc_lo, 0, v2
	s_and_b32 s17, s16, vcc_lo
	s_and_saveexec_b32 s16, s17
	s_cbranch_execz .LBB6_866
; %bb.848:                              ;   in Loop: Header=BB6_800 Depth=3
	s_and_saveexec_b32 s17, s46
	s_xor_b32 s17, exec_lo, s17
	s_cbranch_execz .LBB6_863
; %bb.849:                              ;   in Loop: Header=BB6_800 Depth=3
	s_and_saveexec_b32 s18, s11
	s_cbranch_execz .LBB6_862
; %bb.850:                              ;   in Loop: Header=BB6_800 Depth=3
	s_mov_b32 s20, exec_lo
	s_mov_b32 s19, exec_lo
	v_mbcnt_lo_u32_b32 v2, s20, 0
	s_waitcnt vmcnt(0) lgkmcnt(0)
	s_waitcnt_vscnt null, 0x0
	buffer_gl1_inv
	buffer_gl0_inv
	v_cmpx_eq_u32_e32 0, v2
	s_cbranch_execz .LBB6_852
; %bb.851:                              ;   in Loop: Header=BB6_800 Depth=3
	s_bcnt1_i32_b32 s20, s20
	v_mov_b32_e32 v2, s20
	ds_add_u64 v0, v[2:3]
	s_trap 2
.LBB6_852:                              ;   in Loop: Header=BB6_800 Depth=3
	s_or_b32 exec_lo, exec_lo, s19
	s_trap 2
	ds_read_b64 v[9:10], v0
	s_waitcnt lgkmcnt(0)
	buffer_gl0_inv
	v_add_co_u32 v70, vcc_lo, v70, v89
	v_add_co_ci_u32_e64 v71, null, 0, v71, vcc_lo
	s_mov_b32 s19, exec_lo
	v_cmpx_lt_u64_e64 v[9:10], v[70:71]
	s_cbranch_execz .LBB6_861
; %bb.853:                              ;   in Loop: Header=BB6_800 Depth=3
	s_mov_b32 s20, 0
	s_mov_b32 s41, 0
                                        ; implicit-def: $sgpr21
                                        ; implicit-def: $sgpr28
	s_inst_prefetch 0x1
	s_branch .LBB6_855
	.p2align	6
.LBB6_854:                              ;   in Loop: Header=BB6_855 Depth=4
	s_or_b32 exec_lo, exec_lo, s78
	s_and_b32 s77, exec_lo, s79
	s_or_b32 s20, s77, s20
	s_andn2_b32 s21, s21, exec_lo
	s_and_b32 s77, s28, exec_lo
	s_or_b32 s21, s21, s77
	s_andn2_b32 exec_lo, exec_lo, s20
	s_cbranch_execz .LBB6_859
.LBB6_855:                              ;   Parent Loop BB6_47 Depth=1
                                        ;     Parent Loop BB6_797 Depth=2
                                        ;       Parent Loop BB6_800 Depth=3
                                        ; =>      This Inner Loop Header: Depth=4
	s_add_i32 s41, s41, 1
	s_cmpk_lg_i32 s41, 0x2710
	s_cselect_b32 s77, -1, 0
	s_and_b32 vcc_lo, exec_lo, s77
	s_cbranch_vccz .LBB6_857
; %bb.856:                              ;   in Loop: Header=BB6_855 Depth=4
	s_mov_b32 s79, -1
	s_or_b32 s28, s28, exec_lo
	s_and_saveexec_b32 s78, s77
	s_cbranch_execz .LBB6_854
	s_branch .LBB6_858
	.p2align	6
.LBB6_857:                              ;   in Loop: Header=BB6_855 Depth=4
	s_trap 2
	ds_read_b64 v[9:10], v0
	s_andn2_b32 s77, s77, exec_lo
	s_mov_b32 s41, 0
	s_waitcnt lgkmcnt(0)
	flat_load_dword v2, v[9:10] glc dlc
	s_waitcnt vmcnt(0) lgkmcnt(0)
	buffer_gl1_inv
	buffer_gl0_inv
	v_cmp_eq_u32_e32 vcc_lo, 0, v2
	s_and_b32 s78, vcc_lo, exec_lo
	s_or_b32 s77, s77, s78
	s_mov_b32 s79, -1
	s_or_b32 s28, s28, exec_lo
	s_and_saveexec_b32 s78, s77
	s_cbranch_execz .LBB6_854
.LBB6_858:                              ;   in Loop: Header=BB6_855 Depth=4
	s_sleep 1
	s_trap 2
	ds_read_b64 v[9:10], v0
	s_waitcnt lgkmcnt(0)
	buffer_gl0_inv
	s_andn2_b32 s28, s28, exec_lo
	v_cmp_ge_u64_e32 vcc_lo, v[9:10], v[70:71]
	s_orn2_b32 s79, vcc_lo, exec_lo
	s_branch .LBB6_854
.LBB6_859:                              ;   in Loop: Header=BB6_800 Depth=3
	s_inst_prefetch 0x2
	s_or_b32 exec_lo, exec_lo, s20
	s_and_saveexec_b32 s20, s21
	s_xor_b32 s20, exec_lo, s20
	s_cbranch_execz .LBB6_861
; %bb.860:                              ;   in Loop: Header=BB6_800 Depth=3
	ds_write_b32 v0, v92
	s_trap 2
.LBB6_861:                              ;   in Loop: Header=BB6_800 Depth=3
	s_or_b32 exec_lo, exec_lo, s19
	;;#ASMSTART
	s_wakeup
	;;#ASMEND
.LBB6_862:                              ;   in Loop: Header=BB6_800 Depth=3
	s_or_b32 exec_lo, exec_lo, s18
.LBB6_863:                              ;   in Loop: Header=BB6_800 Depth=3
	s_andn2_saveexec_b32 s17, s17
	s_cbranch_execz .LBB6_865
; %bb.864:                              ;   in Loop: Header=BB6_800 Depth=3
	s_waitcnt vmcnt(0) lgkmcnt(0)
	s_waitcnt_vscnt null, 0x0
	buffer_gl1_inv
	buffer_gl0_inv
	s_barrier
.LBB6_865:                              ;   in Loop: Header=BB6_800 Depth=3
	s_or_b32 exec_lo, exec_lo, s17
.LBB6_866:                              ;   in Loop: Header=BB6_800 Depth=3
	s_or_b32 exec_lo, exec_lo, s16
	s_trap 2
	ds_read_b64 v[18:19], v0
	s_waitcnt lgkmcnt(0)
	v_cmp_eq_u64_e32 vcc_lo, 0, v[18:19]
	s_cbranch_vccnz .LBB6_875
; %bb.867:                              ;   in Loop: Header=BB6_800 Depth=3
	s_trap 2
	ds_read_b64 v[20:21], v0
	s_waitcnt lgkmcnt(0)
	v_cmp_eq_u64_e32 vcc_lo, 0, v[20:21]
	s_cbranch_vccnz .LBB6_875
; %bb.868:                              ;   in Loop: Header=BB6_800 Depth=3
	s_trap 2
	ds_read_b64 v[22:23], v0
	v_cmp_eq_u32_e32 vcc_lo, 0, v8
	s_mov_b32 s16, -1
	v_cndmask_b32_e32 v2, 0, v12, vcc_lo
	v_lshlrev_b32_e32 v13, 3, v2
	s_waitcnt lgkmcnt(0)
	v_cmp_ne_u64_e32 vcc_lo, 0, v[22:23]
	s_cbranch_vccz .LBB6_904
; %bb.869:                              ;   in Loop: Header=BB6_800 Depth=3
	s_and_saveexec_b32 s17, s13
	s_cbranch_execz .LBB6_871
; %bb.870:                              ;   in Loop: Header=BB6_800 Depth=3
	ds_read_b32 v8, v0 offset:720
	s_waitcnt lgkmcnt(0)
	v_and_b32_e32 v8, 15, v8
	v_cmp_eq_u32_e32 vcc_lo, 0, v8
	s_orn2_b32 s16, vcc_lo, exec_lo
.LBB6_871:                              ;   in Loop: Header=BB6_800 Depth=3
	s_or_b32 exec_lo, exec_lo, s17
	s_and_saveexec_b32 s17, s14
	s_cbranch_execz .LBB6_873
; %bb.872:                              ;   in Loop: Header=BB6_800 Depth=3
	ds_read_b32 v8, v0 offset:784
	s_waitcnt lgkmcnt(0)
	v_and_b32_e32 v8, 15, v8
	v_cmp_eq_u32_e32 vcc_lo, 0, v8
	s_and_b32 s18, s16, vcc_lo
	s_andn2_b32 s16, s16, exec_lo
	s_and_b32 s18, s18, exec_lo
	s_or_b32 s16, s16, s18
.LBB6_873:                              ;   in Loop: Header=BB6_800 Depth=3
	s_or_b32 exec_lo, exec_lo, s17
	s_xor_b32 s16, s16, -1
	v_mov_b32_e32 v15, 0
	v_cndmask_b32_e64 v8, 0, 1, s16
	v_mov_b32_e32 v32, v13
	v_mov_b32_e32 v33, v0
	s_mov_b32 s16, -1
	v_cmp_ne_u32_e32 vcc_lo, 0, v8
	s_cbranch_vccz .LBB6_880
; %bb.874:                              ;   in Loop: Header=BB6_800 Depth=3
	s_and_saveexec_b32 s20, s16
	s_cbranch_execnz .LBB6_893
	s_branch .LBB6_903
.LBB6_875:                              ;   in Loop: Header=BB6_800 Depth=3
	s_mov_b32 s16, 0
	s_and_saveexec_b32 s17, s6
	s_cbranch_execnz .LBB6_932
.LBB6_876:                              ;   in Loop: Header=BB6_800 Depth=3
	s_or_b32 exec_lo, exec_lo, s17
                                        ; implicit-def: $vgpr2
	s_and_saveexec_b32 s17, s15
	s_xor_b32 s17, exec_lo, s17
	s_cbranch_execz .LBB6_950
.LBB6_877:                              ;   in Loop: Header=BB6_800 Depth=3
	v_and_b32_e32 v2, 16, v78
	v_cmp_ne_u32_e32 vcc_lo, 0, v2
	v_and_b32_e32 v2, 16, v78
	s_and_b32 s18, vcc_lo, s16
	s_and_saveexec_b32 s16, s18
	s_cbranch_execz .LBB6_879
; %bb.878:                              ;   in Loop: Header=BB6_800 Depth=3
	v_mov_b32_e32 v2, 1
	s_waitcnt vmcnt(0) lgkmcnt(0)
	s_waitcnt_vscnt null, 0x0
	buffer_gl1_inv
	buffer_gl0_inv
.LBB6_879:                              ;   in Loop: Header=BB6_800 Depth=3
	s_or_b32 exec_lo, exec_lo, s16
	s_andn2_saveexec_b32 s16, s17
	s_cbranch_execz .LBB6_969
	s_branch .LBB6_951
.LBB6_880:                              ;   in Loop: Header=BB6_800 Depth=3
	v_ashrrev_i32_e32 v8, 31, v13
	s_mov_b32 s17, exec_lo
	v_lshrrev_b32_e32 v8, 21, v8
	v_add_nc_u32_e32 v8, v13, v8
	v_ashrrev_i32_e32 v15, 11, v8
	v_sub_nc_u32_e32 v34, v15, v91
	v_cmpx_lt_i32_e32 0, v34
	s_cbranch_execz .LBB6_884
; %bb.881:                              ;   in Loop: Header=BB6_800 Depth=3
	v_add_co_u32 v8, vcc_lo, v18, v108
	v_add_co_ci_u32_e64 v9, null, 0, v19, vcc_lo
	v_add_co_u32 v10, vcc_lo, v20, v108
	v_add_co_ci_u32_e64 v11, null, 0, v21, vcc_lo
	;; [unrolled: 2-line block ×3, first 2 shown]
	s_mov_b32 s18, 0
	s_inst_prefetch 0x1
	.p2align	6
.LBB6_882:                              ;   Parent Loop BB6_47 Depth=1
                                        ;     Parent Loop BB6_797 Depth=2
                                        ;       Parent Loop BB6_800 Depth=3
                                        ; =>      This Inner Loop Header: Depth=4
	s_clause 0x3
	global_load_dwordx4 v[35:38], v[8:9], off slc
	global_load_dwordx4 v[48:51], v[8:9], off offset:512 slc
	global_load_dwordx4 v[112:115], v[8:9], off offset:1024 slc
	;; [unrolled: 1-line block ×3, first 2 shown]
	v_sub_nc_u32_e32 v34, v34, v89
	v_add_co_u32 v8, vcc_lo, v8, v107
	v_add_co_ci_u32_e64 v9, null, 0, v9, vcc_lo
	v_cmp_gt_i32_e32 vcc_lo, 1, v34
	s_waitcnt vmcnt(3)
	global_store_dwordx4 v[10:11], v[35:38], off glc slc
	s_waitcnt vmcnt(2)
	global_store_dwordx4 v[10:11], v[48:51], off offset:512 glc slc
	s_waitcnt vmcnt(1)
	global_store_dwordx4 v[10:11], v[112:115], off offset:1024 glc slc
	;; [unrolled: 2-line block ×3, first 2 shown]
	global_store_dwordx4 v[24:25], v[35:38], off glc slc
	global_store_dwordx4 v[24:25], v[48:51], off offset:512 glc slc
	global_store_dwordx4 v[24:25], v[112:115], off offset:1024 glc slc
	;; [unrolled: 1-line block ×3, first 2 shown]
	v_add_co_u32 v10, s16, v10, v107
	v_add_co_ci_u32_e64 v11, null, 0, v11, s16
	v_add_co_u32 v24, s16, v24, v107
	v_add_co_ci_u32_e64 v25, null, 0, v25, s16
	s_or_b32 s18, vcc_lo, s18
	s_andn2_b32 exec_lo, exec_lo, s18
	s_cbranch_execnz .LBB6_882
; %bb.883:                              ;   in Loop: Header=BB6_800 Depth=3
	s_inst_prefetch 0x2
	s_or_b32 exec_lo, exec_lo, s18
.LBB6_884:                              ;   in Loop: Header=BB6_800 Depth=3
	s_or_b32 exec_lo, exec_lo, s17
	v_lshlrev_b32_e32 v27, 11, v15
	v_mov_b32_e32 v15, 0
	s_mov_b32 s16, 0
	s_mov_b32 s19, exec_lo
                                        ; implicit-def: $vgpr32
                                        ; implicit-def: $vgpr33
	v_cmpx_ne_u32_e64 v13, v27
	s_cbranch_execz .LBB6_892
; %bb.885:                              ;   in Loop: Header=BB6_800 Depth=3
	v_lshlrev_b32_e32 v8, 5, v34
	v_sub_nc_u32_e32 v10, v13, v27
	s_mov_b32 s28, exec_lo
	v_sub_nc_u32_e32 v8, v90, v8
	v_ashrrev_i32_e32 v11, 31, v10
	v_ashrrev_i32_e32 v9, 31, v8
	v_lshrrev_b32_e32 v11, 23, v11
	v_lshrrev_b32_e32 v9, 27, v9
	v_add_nc_u32_e32 v11, v10, v11
	v_add_nc_u32_e32 v9, v8, v9
	v_and_b32_e32 v15, 0xffffffe0, v9
	v_ashrrev_i32_e32 v9, 5, v9
	v_sub_nc_u32_e32 v33, v8, v15
	v_and_b32_e32 v15, 0xfffffe00, v11
	v_ashrrev_i32_e32 v11, 9, v11
	v_lshlrev_b32_e32 v8, 4, v33
	v_sub_nc_u32_e32 v32, v10, v15
	v_lshl_add_u32 v8, v9, 9, v8
	v_cmp_lt_i32_e64 s16, 15, v32
	v_sub_nc_u32_e32 v35, v10, v8
	v_add_co_ci_u32_e64 v11, null, 0, v11, s16
	v_sub_nc_u32_e32 v34, v11, v9
	v_cmpx_lt_i32_e32 15, v35
	s_cbranch_execz .LBB6_891
; %bb.886:                              ;   in Loop: Header=BB6_800 Depth=3
	v_add_nc_u32_e32 v8, v8, v27
	s_mov_b32 s41, 0
	v_ashrrev_i32_e32 v9, 31, v8
	v_add_co_u32 v24, vcc_lo, v8, v18
	v_add_co_ci_u32_e64 v25, null, v9, v19, vcc_lo
	v_add_co_u32 v36, vcc_lo, v8, v20
	v_add_co_ci_u32_e64 v37, null, v9, v21, vcc_lo
	;; [unrolled: 2-line block ×3, first 2 shown]
	s_inst_prefetch 0x1
	.p2align	6
.LBB6_887:                              ;   Parent Loop BB6_47 Depth=1
                                        ;     Parent Loop BB6_797 Depth=2
                                        ;       Parent Loop BB6_800 Depth=3
                                        ; =>      This Loop Header: Depth=4
                                        ;           Child Loop BB6_888 Depth 5
	global_load_dwordx4 v[8:11], v[24:25], off slc
	s_mov_b64 s[20:21], 0
	s_mov_b32 s77, -1
	.p2align	6
.LBB6_888:                              ;   Parent Loop BB6_47 Depth=1
                                        ;     Parent Loop BB6_797 Depth=2
                                        ;       Parent Loop BB6_800 Depth=3
                                        ;         Parent Loop BB6_887 Depth=4
                                        ; =>        This Inner Loop Header: Depth=5
	s_cmp_eq_u32 s20, 1
	s_cselect_b32 vcc_lo, -1, 0
	s_cmp_eq_u32 s20, 0
	v_cndmask_b32_e32 v48, v36, v38, vcc_lo
	v_cndmask_b32_e32 v49, v37, v39, vcc_lo
	s_mov_b64 s[20:21], 1
	v_add_co_u32 v50, s17, 0x200, v48
	v_add_co_ci_u32_e64 v51, null, 0, v49, s17
	s_cselect_b32 s17, -1, 0
	v_cndmask_b32_e32 v38, v38, v50, vcc_lo
	v_cndmask_b32_e64 v36, v36, v50, s17
	v_cndmask_b32_e32 v39, v39, v51, vcc_lo
	v_cndmask_b32_e64 v37, v37, v51, s17
	s_and_b32 s18, exec_lo, s77
	s_mov_b32 s77, 0
	s_mov_b32 vcc_lo, s18
	s_waitcnt vmcnt(0)
	global_store_dwordx4 v[48:49], v[8:11], off glc slc
	s_cbranch_vccnz .LBB6_888
; %bb.889:                              ;   in Loop: Header=BB6_887 Depth=4
	v_sub_nc_u32_e32 v35, v35, v104
	v_add_co_u32 v36, vcc_lo, v36, v109
	v_add_co_ci_u32_e64 v37, null, v37, v120, vcc_lo
	v_add_co_u32 v38, vcc_lo, v38, v109
	v_add_co_ci_u32_e64 v39, null, v39, v120, vcc_lo
	v_cmp_gt_i32_e32 vcc_lo, 16, v35
	v_add_co_u32 v24, s17, v122, v24
	v_add_co_ci_u32_e64 v25, null, v123, v25, s17
	v_sub_nc_u32_e32 v34, v34, v89
	s_or_b32 s41, vcc_lo, s41
	s_andn2_b32 exec_lo, exec_lo, s41
	s_cbranch_execnz .LBB6_887
; %bb.890:                              ;   in Loop: Header=BB6_800 Depth=3
	s_inst_prefetch 0x2
	s_or_b32 exec_lo, exec_lo, s41
.LBB6_891:                              ;   in Loop: Header=BB6_800 Depth=3
	s_or_b32 exec_lo, exec_lo, s28
	v_and_b32_e32 v8, 8, v13
	v_cmp_lt_i32_e32 vcc_lo, 0, v34
	v_sub_nc_u32_e32 v9, v32, v8
	v_cndmask_b32_e32 v10, 0, v89, vcc_lo
	v_cndmask_b32_e64 v32, v32, v8, s16
	v_cndmask_b32_e64 v8, 0, v9, s16
	v_sub_nc_u32_e32 v9, v10, v34
	v_cmp_ne_u32_e32 vcc_lo, 0, v32
	v_add3_u32 v15, v15, v27, v8
	v_lshl_add_u32 v33, v9, 5, v33
	s_and_b32 s16, vcc_lo, exec_lo
.LBB6_892:                              ;   in Loop: Header=BB6_800 Depth=3
	s_or_b32 exec_lo, exec_lo, s19
	s_and_saveexec_b32 s20, s16
	s_cbranch_execz .LBB6_903
.LBB6_893:                              ;   in Loop: Header=BB6_800 Depth=3
	v_ashrrev_i32_e32 v8, 31, v33
	v_ashrrev_i32_e32 v9, 31, v32
	s_mov_b32 s17, exec_lo
	v_lshrrev_b32_e32 v8, 27, v8
	v_lshrrev_b32_e32 v9, 22, v9
	v_add_nc_u32_e32 v8, v33, v8
	v_add_nc_u32_e32 v9, v32, v9
	v_ashrrev_i32_e32 v27, 5, v8
	v_ashrrev_i32_e32 v35, 10, v9
	v_sub_nc_u32_e32 v34, v35, v27
	v_cmpx_lt_i32_e32 0, v34
	s_cbranch_execz .LBB6_897
; %bb.894:                              ;   in Loop: Header=BB6_800 Depth=3
	v_and_b32_e32 v8, 0x1fffffe0, v8
	v_lshlrev_b32_e32 v9, 10, v27
	s_mov_b32 s18, 0
	v_sub_nc_u32_e32 v8, v33, v8
	v_lshlrev_b32_e32 v8, 3, v8
	v_add3_u32 v24, v8, v15, v9
	v_ashrrev_i32_e32 v25, 31, v24
	v_add_co_u32 v8, vcc_lo, v24, v18
	v_add_co_ci_u32_e64 v9, null, v25, v19, vcc_lo
	v_add_co_u32 v10, vcc_lo, v24, v20
	v_add_co_ci_u32_e64 v11, null, v25, v21, vcc_lo
	;; [unrolled: 2-line block ×3, first 2 shown]
	s_inst_prefetch 0x1
	.p2align	6
.LBB6_895:                              ;   Parent Loop BB6_47 Depth=1
                                        ;     Parent Loop BB6_797 Depth=2
                                        ;       Parent Loop BB6_800 Depth=3
                                        ; =>      This Inner Loop Header: Depth=4
	s_clause 0x3
	flat_load_dwordx2 v[36:37], v[8:9] slc
	flat_load_dwordx2 v[38:39], v[8:9] offset:256 slc
	flat_load_dwordx2 v[48:49], v[8:9] offset:512 slc
	flat_load_dwordx2 v[50:51], v[8:9] offset:768 slc
	v_sub_nc_u32_e32 v34, v34, v89
	v_add_co_u32 v8, vcc_lo, v8, v105
	v_add_co_ci_u32_e64 v9, null, 0, v9, vcc_lo
	v_cmp_gt_i32_e32 vcc_lo, 1, v34
	s_waitcnt vmcnt(3) lgkmcnt(3)
	flat_store_dwordx2 v[10:11], v[36:37] glc slc
	s_waitcnt vmcnt(2) lgkmcnt(3)
	flat_store_dwordx2 v[10:11], v[38:39] offset:256 glc slc
	s_waitcnt vmcnt(1) lgkmcnt(3)
	flat_store_dwordx2 v[10:11], v[48:49] offset:512 glc slc
	;; [unrolled: 2-line block ×3, first 2 shown]
	flat_store_dwordx2 v[24:25], v[36:37] glc slc
	flat_store_dwordx2 v[24:25], v[38:39] offset:256 glc slc
	flat_store_dwordx2 v[24:25], v[48:49] offset:512 glc slc
	;; [unrolled: 1-line block ×3, first 2 shown]
	v_add_co_u32 v10, s16, v10, v105
	v_add_co_ci_u32_e64 v11, null, 0, v11, s16
	v_add_co_u32 v24, s16, v24, v105
	v_add_co_ci_u32_e64 v25, null, 0, v25, s16
	s_or_b32 s18, vcc_lo, s18
	s_andn2_b32 exec_lo, exec_lo, s18
	s_cbranch_execnz .LBB6_895
; %bb.896:                              ;   in Loop: Header=BB6_800 Depth=3
	s_inst_prefetch 0x2
	s_or_b32 exec_lo, exec_lo, s18
.LBB6_897:                              ;   in Loop: Header=BB6_800 Depth=3
	s_or_b32 exec_lo, exec_lo, s17
	v_lshlrev_b32_e32 v8, 10, v35
	v_cmp_ne_u32_e32 vcc_lo, v32, v8
	s_and_b32 exec_lo, exec_lo, vcc_lo
	s_cbranch_execz .LBB6_903
; %bb.898:                              ;   in Loop: Header=BB6_800 Depth=3
	v_lshlrev_b32_e32 v9, 5, v27
	v_lshlrev_b32_e32 v10, 5, v34
	v_sub_nc_u32_e32 v9, v33, v9
	v_sub_nc_u32_e32 v9, v9, v10
	v_ashrrev_i32_e32 v10, 31, v9
	v_lshrrev_b32_e32 v10, 27, v10
	v_add_nc_u32_e32 v10, v9, v10
	v_and_b32_e32 v11, 0x1fffffe0, v10
	v_lshlrev_b32_e32 v10, 3, v10
	v_sub_nc_u32_e32 v9, v9, v11
	v_and_b32_e32 v10, 0xffffff00, v10
	v_lshlrev_b32_e32 v9, 3, v9
	v_add3_u32 v8, v10, v9, v8
	v_sub_nc_u32_e32 v24, v32, v8
	v_cmp_lt_i32_e32 vcc_lo, 7, v24
	s_and_b32 exec_lo, exec_lo, vcc_lo
	s_cbranch_execz .LBB6_903
; %bb.899:                              ;   in Loop: Header=BB6_800 Depth=3
	v_add_nc_u32_e32 v10, v8, v15
	s_mov_b32 s21, 0
	v_ashrrev_i32_e32 v11, 31, v10
	v_add_co_u32 v8, vcc_lo, v10, v18
	v_add_co_ci_u32_e64 v9, null, v11, v19, vcc_lo
	v_add_co_u32 v15, vcc_lo, v10, v20
	v_add_co_ci_u32_e64 v25, null, v11, v21, vcc_lo
	;; [unrolled: 2-line block ×3, first 2 shown]
	s_inst_prefetch 0x1
	.p2align	6
.LBB6_900:                              ;   Parent Loop BB6_47 Depth=1
                                        ;     Parent Loop BB6_797 Depth=2
                                        ;       Parent Loop BB6_800 Depth=3
                                        ; =>      This Loop Header: Depth=4
                                        ;           Child Loop BB6_901 Depth 5
	flat_load_dwordx2 v[10:11], v[8:9] slc
	s_mov_b64 s[18:19], 0
	s_mov_b32 s28, -1
	.p2align	6
.LBB6_901:                              ;   Parent Loop BB6_47 Depth=1
                                        ;     Parent Loop BB6_797 Depth=2
                                        ;       Parent Loop BB6_800 Depth=3
                                        ;         Parent Loop BB6_900 Depth=4
                                        ; =>        This Inner Loop Header: Depth=5
	s_cmp_eq_u32 s18, 1
	s_cselect_b32 vcc_lo, -1, 0
	s_cmp_eq_u32 s18, 0
	v_cndmask_b32_e32 v32, v15, v22, vcc_lo
	v_cndmask_b32_e32 v33, v25, v23, vcc_lo
	s_mov_b64 s[18:19], 1
	v_add_co_u32 v27, s16, 0x100, v32
	v_add_co_ci_u32_e64 v34, null, 0, v33, s16
	s_cselect_b32 s16, -1, 0
	v_cndmask_b32_e32 v22, v22, v27, vcc_lo
	v_cndmask_b32_e64 v15, v15, v27, s16
	v_cndmask_b32_e32 v23, v23, v34, vcc_lo
	v_cndmask_b32_e64 v25, v25, v34, s16
	s_and_b32 s17, exec_lo, s28
	s_mov_b32 s28, 0
	s_mov_b32 vcc_lo, s17
	s_waitcnt vmcnt(0) lgkmcnt(0)
	flat_store_dwordx2 v[32:33], v[10:11] glc slc
	s_cbranch_vccnz .LBB6_901
; %bb.902:                              ;   in Loop: Header=BB6_900 Depth=4
	v_sub_nc_u32_e32 v24, v24, v106
	v_add_co_u32 v15, vcc_lo, v15, v110
	v_add_co_ci_u32_e64 v25, null, v25, v121, vcc_lo
	v_add_co_u32 v22, vcc_lo, v22, v110
	v_add_co_ci_u32_e64 v23, null, v23, v121, vcc_lo
	v_cmp_gt_i32_e32 vcc_lo, 8, v24
	v_add_co_u32 v8, s16, v124, v8
	v_add_co_ci_u32_e64 v9, null, v125, v9, s16
	s_or_b32 s21, vcc_lo, s21
	s_andn2_b32 exec_lo, exec_lo, s21
	s_cbranch_execnz .LBB6_900
.LBB6_903:                              ;   in Loop: Header=BB6_800 Depth=3
	s_inst_prefetch 0x2
	s_or_b32 exec_lo, exec_lo, s20
	s_mov_b32 s16, 0
.LBB6_904:                              ;   in Loop: Header=BB6_800 Depth=3
	s_and_b32 vcc_lo, exec_lo, s16
	s_cbranch_vccz .LBB6_931
; %bb.905:                              ;   in Loop: Header=BB6_800 Depth=3
	s_mov_b32 s16, -1
	s_and_saveexec_b32 s17, s13
	s_cbranch_execz .LBB6_907
; %bb.906:                              ;   in Loop: Header=BB6_800 Depth=3
	ds_read_b32 v8, v0 offset:720
	s_waitcnt lgkmcnt(0)
	v_and_b32_e32 v8, 15, v8
	v_cmp_eq_u32_e32 vcc_lo, 0, v8
	s_orn2_b32 s16, vcc_lo, exec_lo
.LBB6_907:                              ;   in Loop: Header=BB6_800 Depth=3
	s_or_b32 exec_lo, exec_lo, s17
	s_and_saveexec_b32 s17, s12
	s_cbranch_execz .LBB6_909
; %bb.908:                              ;   in Loop: Header=BB6_800 Depth=3
	ds_read_b32 v8, v0 offset:784
	s_waitcnt lgkmcnt(0)
	v_and_b32_e32 v8, 15, v8
	v_cmp_eq_u32_e32 vcc_lo, 0, v8
	s_and_b32 s18, s16, vcc_lo
	s_andn2_b32 s16, s16, exec_lo
	s_and_b32 s18, s18, exec_lo
	s_or_b32 s16, s16, s18
.LBB6_909:                              ;   in Loop: Header=BB6_800 Depth=3
	s_or_b32 exec_lo, exec_lo, s17
	s_xor_b32 s16, s16, -1
	v_mov_b32_e32 v15, 0
	v_cndmask_b32_e64 v8, 0, 1, s16
	s_mov_b32 s16, -1
	v_cmp_ne_u32_e32 vcc_lo, 0, v8
	s_cbranch_vccz .LBB6_911
; %bb.910:                              ;   in Loop: Header=BB6_800 Depth=3
	v_mov_b32_e32 v22, v0
	s_and_saveexec_b32 s17, s16
	s_cbranch_execnz .LBB6_922
	s_branch .LBB6_930
.LBB6_911:                              ;   in Loop: Header=BB6_800 Depth=3
	v_ashrrev_i32_e32 v8, 31, v13
	s_mov_b32 s17, exec_lo
	v_lshrrev_b32_e32 v8, 20, v8
	v_add_nc_u32_e32 v8, v13, v8
	v_ashrrev_i32_e32 v15, 12, v8
	v_sub_nc_u32_e32 v23, v15, v91
	v_cmpx_lt_i32_e32 0, v23
	s_cbranch_execz .LBB6_915
; %bb.912:                              ;   in Loop: Header=BB6_800 Depth=3
	v_mov_b32_e32 v8, v20
	v_mov_b32_e32 v10, v18
	;; [unrolled: 1-line block ×4, first 2 shown]
	s_mov_b32 s18, 0
.LBB6_913:                              ;   Parent Loop BB6_47 Depth=1
                                        ;     Parent Loop BB6_797 Depth=2
                                        ;       Parent Loop BB6_800 Depth=3
                                        ; =>      This Inner Loop Header: Depth=4
	v_add_co_u32 v24, vcc_lo, v111, v10
	v_add_co_ci_u32_e64 v25, null, 0, v11, vcc_lo
	v_sub_nc_u32_e32 v23, v23, v89
	v_add_co_u32 v52, vcc_lo, 0x800, v24
	v_add_co_ci_u32_e64 v53, null, 0, v25, vcc_lo
	s_clause 0x3
	global_load_dwordx4 v[32:35], v[24:25], off slc
	global_load_dwordx4 v[36:39], v[24:25], off offset:512 slc
	global_load_dwordx4 v[48:51], v[24:25], off offset:1024 slc
	;; [unrolled: 1-line block ×3, first 2 shown]
	s_clause 0x3
	global_load_dwordx4 v[116:119], v[52:53], off slc
	global_load_dwordx4 v[40:43], v[52:53], off offset:512 slc
	global_load_dwordx4 v[44:47], v[52:53], off offset:1024 slc
	;; [unrolled: 1-line block ×3, first 2 shown]
	v_add_co_u32 v24, vcc_lo, v111, v8
	v_add_co_ci_u32_e64 v25, null, 0, v9, vcc_lo
	v_add_co_u32 v10, vcc_lo, v10, v95
	v_add_co_ci_u32_e64 v11, null, 0, v11, vcc_lo
	;; [unrolled: 2-line block ×3, first 2 shown]
	v_cmp_gt_i32_e32 vcc_lo, 1, v23
	v_add_co_u32 v52, s16, 0x800, v24
	v_add_co_ci_u32_e64 v53, null, 0, v25, s16
	s_or_b32 s18, vcc_lo, s18
	s_waitcnt vmcnt(7)
	global_store_dwordx4 v[24:25], v[32:35], off glc slc
	s_waitcnt vmcnt(6)
	global_store_dwordx4 v[24:25], v[36:39], off offset:512 glc slc
	s_waitcnt vmcnt(5)
	global_store_dwordx4 v[24:25], v[48:51], off offset:1024 glc slc
	;; [unrolled: 2-line block ×3, first 2 shown]
	s_waitcnt vmcnt(3)
	global_store_dwordx4 v[52:53], v[116:119], off glc slc
	s_waitcnt vmcnt(2)
	global_store_dwordx4 v[52:53], v[40:43], off offset:512 glc slc
	s_waitcnt vmcnt(1)
	global_store_dwordx4 v[52:53], v[44:47], off offset:1024 glc slc
	s_waitcnt vmcnt(0)
	global_store_dwordx4 v[52:53], v[56:59], off offset:1536 glc slc
	s_andn2_b32 exec_lo, exec_lo, s18
	s_cbranch_execnz .LBB6_913
; %bb.914:                              ;   in Loop: Header=BB6_800 Depth=3
	s_or_b32 exec_lo, exec_lo, s18
.LBB6_915:                              ;   in Loop: Header=BB6_800 Depth=3
	s_or_b32 exec_lo, exec_lo, s17
	v_lshlrev_b32_e32 v8, 12, v15
	v_mov_b32_e32 v15, 0
	s_mov_b32 s16, 0
	s_mov_b32 s18, exec_lo
                                        ; implicit-def: $vgpr22
	v_cmpx_ne_u32_e64 v13, v8
	s_cbranch_execz .LBB6_921
; %bb.916:                              ;   in Loop: Header=BB6_800 Depth=3
	v_lshlrev_b32_e32 v9, 5, v23
	v_sub_nc_u32_e32 v15, v13, v8
	s_mov_b32 s19, exec_lo
	v_sub_nc_u32_e32 v9, v90, v9
	v_ashrrev_i32_e32 v11, 31, v15
	v_ashrrev_i32_e32 v10, 31, v9
	v_lshrrev_b32_e32 v10, 27, v10
	v_add_nc_u32_e32 v22, v9, v10
	v_lshrrev_b32_e32 v10, 23, v11
	v_and_b32_e32 v11, 0xffffffe0, v22
	v_add_nc_u32_e32 v23, v15, v10
	v_ashrrev_i32_e32 v24, 5, v22
	v_sub_nc_u32_e32 v9, v9, v11
	v_and_b32_e32 v10, 0xfffffe00, v23
	v_ashrrev_i32_e32 v25, 9, v23
	v_lshlrev_b32_e32 v22, 4, v9
	v_sub_nc_u32_e32 v11, v15, v10
	v_lshl_add_u32 v23, v24, 9, v22
	v_cmp_lt_i32_e32 vcc_lo, 15, v11
	v_sub_nc_u32_e32 v22, v15, v23
	v_add_co_ci_u32_e64 v25, null, 0, v25, vcc_lo
	v_sub_nc_u32_e32 v15, v25, v24
	v_cmpx_lt_i32_e32 15, v22
	s_cbranch_execz .LBB6_920
; %bb.917:                              ;   in Loop: Header=BB6_800 Depth=3
	v_add_nc_u32_e32 v23, v23, v8
	s_mov_b32 s20, 0
	v_ashrrev_i32_e32 v24, 31, v23
	.p2align	6
.LBB6_918:                              ;   Parent Loop BB6_47 Depth=1
                                        ;     Parent Loop BB6_797 Depth=2
                                        ;       Parent Loop BB6_800 Depth=3
                                        ; =>      This Inner Loop Header: Depth=4
	v_add_co_u32 v32, s16, v18, v23
	v_add_co_ci_u32_e64 v33, null, v19, v24, s16
	v_sub_nc_u32_e32 v22, v22, v104
	v_add_co_u32 v36, s16, v20, v23
	global_load_dwordx4 v[32:35], v[32:33], off slc
	v_add_co_ci_u32_e64 v37, null, v21, v24, s16
	v_cmp_gt_i32_e64 s16, 16, v22
	v_add_co_u32 v23, s17, v23, v104
	v_sub_nc_u32_e32 v15, v15, v89
	v_add_co_ci_u32_e64 v24, null, 0, v24, s17
	s_or_b32 s20, s16, s20
	s_waitcnt vmcnt(0)
	global_store_dwordx4 v[36:37], v[32:35], off glc slc
	s_andn2_b32 exec_lo, exec_lo, s20
	s_cbranch_execnz .LBB6_918
; %bb.919:                              ;   in Loop: Header=BB6_800 Depth=3
	s_or_b32 exec_lo, exec_lo, s20
.LBB6_920:                              ;   in Loop: Header=BB6_800 Depth=3
	s_or_b32 exec_lo, exec_lo, s19
	v_and_b32_e32 v13, 8, v13
	v_cmp_lt_i32_e64 s16, 0, v15
	v_sub_nc_u32_e32 v22, v11, v13
	v_cndmask_b32_e64 v23, 0, v89, s16
	v_cndmask_b32_e32 v13, v11, v13, vcc_lo
	v_cndmask_b32_e32 v11, 0, v22, vcc_lo
	v_sub_nc_u32_e32 v22, v23, v15
	v_cmp_ne_u32_e32 vcc_lo, 0, v13
	v_add3_u32 v15, v10, v8, v11
	v_lshl_add_u32 v22, v22, 5, v9
	s_and_b32 s16, vcc_lo, exec_lo
.LBB6_921:                              ;   in Loop: Header=BB6_800 Depth=3
	s_or_b32 exec_lo, exec_lo, s18
	s_and_saveexec_b32 s17, s16
	s_cbranch_execz .LBB6_930
.LBB6_922:                              ;   in Loop: Header=BB6_800 Depth=3
	v_ashrrev_i32_e32 v8, 31, v22
	v_ashrrev_i32_e32 v9, 31, v13
	s_mov_b32 s18, exec_lo
	v_lshrrev_b32_e32 v8, 27, v8
	v_lshrrev_b32_e32 v9, 22, v9
	v_add_nc_u32_e32 v8, v22, v8
	v_add_nc_u32_e32 v9, v13, v9
	v_ashrrev_i32_e32 v23, 5, v8
	v_ashrrev_i32_e32 v25, 10, v9
	v_sub_nc_u32_e32 v24, v25, v23
	v_cmpx_lt_i32_e32 0, v24
	s_cbranch_execz .LBB6_926
; %bb.923:                              ;   in Loop: Header=BB6_800 Depth=3
	v_and_b32_e32 v8, 0x1fffffe0, v8
	v_lshlrev_b32_e32 v9, 10, v23
	v_mov_b32_e32 v10, v18
	v_mov_b32_e32 v11, v19
	s_mov_b32 s19, 0
	v_sub_nc_u32_e32 v8, v22, v8
	v_lshlrev_b32_e32 v8, 3, v8
	v_add3_u32 v27, v8, v15, v9
	v_mov_b32_e32 v8, v20
	v_mov_b32_e32 v9, v21
	v_ashrrev_i32_e32 v32, 31, v27
	s_inst_prefetch 0x1
	.p2align	6
.LBB6_924:                              ;   Parent Loop BB6_47 Depth=1
                                        ;     Parent Loop BB6_797 Depth=2
                                        ;       Parent Loop BB6_800 Depth=3
                                        ; =>      This Inner Loop Header: Depth=4
	v_add_co_u32 v33, vcc_lo, v27, v10
	v_add_co_ci_u32_e64 v34, null, v32, v11, vcc_lo
	v_sub_nc_u32_e32 v24, v24, v89
	v_add_co_u32 v50, vcc_lo, v27, v8
	s_clause 0x3
	flat_load_dwordx2 v[35:36], v[33:34] slc
	flat_load_dwordx2 v[37:38], v[33:34] offset:256 slc
	flat_load_dwordx2 v[48:49], v[33:34] offset:512 slc
	flat_load_dwordx2 v[33:34], v[33:34] offset:768 slc
	v_add_co_ci_u32_e64 v51, null, v32, v9, vcc_lo
	v_add_co_u32 v10, vcc_lo, v10, v105
	v_add_co_ci_u32_e64 v11, null, 0, v11, vcc_lo
	v_add_co_u32 v8, vcc_lo, v8, v105
	v_cmp_gt_i32_e64 s16, 1, v24
	v_add_co_ci_u32_e64 v9, null, 0, v9, vcc_lo
	s_waitcnt vmcnt(3) lgkmcnt(3)
	flat_store_dwordx2 v[50:51], v[35:36] glc slc
	s_waitcnt vmcnt(2) lgkmcnt(3)
	flat_store_dwordx2 v[50:51], v[37:38] offset:256 glc slc
	s_waitcnt vmcnt(1) lgkmcnt(3)
	flat_store_dwordx2 v[50:51], v[48:49] offset:512 glc slc
	;; [unrolled: 2-line block ×3, first 2 shown]
	s_or_b32 s19, s16, s19
	s_andn2_b32 exec_lo, exec_lo, s19
	s_cbranch_execnz .LBB6_924
; %bb.925:                              ;   in Loop: Header=BB6_800 Depth=3
	s_inst_prefetch 0x2
	s_or_b32 exec_lo, exec_lo, s19
.LBB6_926:                              ;   in Loop: Header=BB6_800 Depth=3
	s_or_b32 exec_lo, exec_lo, s18
	v_lshlrev_b32_e32 v8, 10, v25
	v_cmp_ne_u32_e32 vcc_lo, v13, v8
	s_and_b32 exec_lo, exec_lo, vcc_lo
	s_cbranch_execz .LBB6_930
; %bb.927:                              ;   in Loop: Header=BB6_800 Depth=3
	v_lshlrev_b32_e32 v9, 5, v23
	v_lshlrev_b32_e32 v10, 5, v24
	v_sub_nc_u32_e32 v9, v22, v9
	v_sub_nc_u32_e32 v9, v9, v10
	v_ashrrev_i32_e32 v10, 31, v9
	v_lshrrev_b32_e32 v10, 27, v10
	v_add_nc_u32_e32 v10, v9, v10
	v_and_b32_e32 v11, 0x1fffffe0, v10
	v_lshlrev_b32_e32 v10, 3, v10
	v_sub_nc_u32_e32 v9, v9, v11
	v_and_b32_e32 v10, 0xffffff00, v10
	v_lshlrev_b32_e32 v9, 3, v9
	v_add3_u32 v9, v10, v9, v8
	v_sub_nc_u32_e32 v8, v13, v9
	v_cmp_lt_i32_e32 vcc_lo, 7, v8
	s_and_b32 exec_lo, exec_lo, vcc_lo
	s_cbranch_execz .LBB6_930
; %bb.928:                              ;   in Loop: Header=BB6_800 Depth=3
	v_add_nc_u32_e32 v9, v9, v15
	s_mov_b32 s18, 0
	v_ashrrev_i32_e32 v10, 31, v9
	.p2align	6
.LBB6_929:                              ;   Parent Loop BB6_47 Depth=1
                                        ;     Parent Loop BB6_797 Depth=2
                                        ;       Parent Loop BB6_800 Depth=3
                                        ; =>      This Inner Loop Header: Depth=4
	v_add_co_u32 v22, vcc_lo, v18, v9
	v_add_co_ci_u32_e64 v23, null, v19, v10, vcc_lo
	v_sub_nc_u32_e32 v8, v8, v106
	v_add_co_u32 v24, vcc_lo, v20, v9
	flat_load_dwordx2 v[22:23], v[22:23] slc
	v_add_co_ci_u32_e64 v25, null, v21, v10, vcc_lo
	v_cmp_gt_i32_e32 vcc_lo, 8, v8
	v_add_co_u32 v9, s16, v9, v106
	v_add_co_ci_u32_e64 v10, null, 0, v10, s16
	s_or_b32 s18, vcc_lo, s18
	s_waitcnt vmcnt(0) lgkmcnt(0)
	flat_store_dwordx2 v[24:25], v[22:23] glc slc
	s_andn2_b32 exec_lo, exec_lo, s18
	s_cbranch_execnz .LBB6_929
.LBB6_930:                              ;   in Loop: Header=BB6_800 Depth=3
	s_or_b32 exec_lo, exec_lo, s17
.LBB6_931:                              ;   in Loop: Header=BB6_800 Depth=3
	v_cmp_lt_i32_e64 s16, 0, v2
	s_and_saveexec_b32 s17, s6
	s_cbranch_execz .LBB6_876
.LBB6_932:                              ;   in Loop: Header=BB6_800 Depth=3
	s_and_saveexec_b32 s18, s46
	s_xor_b32 s18, exec_lo, s18
	s_cbranch_execz .LBB6_947
; %bb.933:                              ;   in Loop: Header=BB6_800 Depth=3
	s_and_saveexec_b32 s19, s11
	s_cbranch_execz .LBB6_946
; %bb.934:                              ;   in Loop: Header=BB6_800 Depth=3
	s_mov_b32 s21, exec_lo
	s_mov_b32 s20, exec_lo
	v_mbcnt_lo_u32_b32 v2, s21, 0
	s_waitcnt vmcnt(0) lgkmcnt(0)
	s_waitcnt_vscnt null, 0x0
	buffer_gl1_inv
	buffer_gl0_inv
	v_cmpx_eq_u32_e32 0, v2
	s_cbranch_execz .LBB6_936
; %bb.935:                              ;   in Loop: Header=BB6_800 Depth=3
	s_bcnt1_i32_b32 s21, s21
	v_mov_b32_e32 v2, s21
	ds_add_u64 v0, v[2:3]
	s_trap 2
.LBB6_936:                              ;   in Loop: Header=BB6_800 Depth=3
	s_or_b32 exec_lo, exec_lo, s20
	s_trap 2
	ds_read_b64 v[8:9], v0
	s_waitcnt lgkmcnt(0)
	buffer_gl0_inv
	v_add_co_u32 v70, vcc_lo, v70, v89
	v_add_co_ci_u32_e64 v71, null, 0, v71, vcc_lo
	s_mov_b32 s20, exec_lo
	v_cmpx_lt_u64_e64 v[8:9], v[70:71]
	s_cbranch_execz .LBB6_945
; %bb.937:                              ;   in Loop: Header=BB6_800 Depth=3
	s_mov_b32 s21, 0
	s_mov_b32 s77, 0
                                        ; implicit-def: $sgpr28
                                        ; implicit-def: $sgpr41
	s_inst_prefetch 0x1
	s_branch .LBB6_939
	.p2align	6
.LBB6_938:                              ;   in Loop: Header=BB6_939 Depth=4
	s_or_b32 exec_lo, exec_lo, s79
	s_and_b32 s78, exec_lo, s88
	s_or_b32 s21, s78, s21
	s_andn2_b32 s28, s28, exec_lo
	s_and_b32 s78, s41, exec_lo
	s_or_b32 s28, s28, s78
	s_andn2_b32 exec_lo, exec_lo, s21
	s_cbranch_execz .LBB6_943
.LBB6_939:                              ;   Parent Loop BB6_47 Depth=1
                                        ;     Parent Loop BB6_797 Depth=2
                                        ;       Parent Loop BB6_800 Depth=3
                                        ; =>      This Inner Loop Header: Depth=4
	s_add_i32 s77, s77, 1
	s_cmpk_lg_i32 s77, 0x2710
	s_cselect_b32 s78, -1, 0
	s_and_b32 vcc_lo, exec_lo, s78
	s_cbranch_vccz .LBB6_941
; %bb.940:                              ;   in Loop: Header=BB6_939 Depth=4
	s_mov_b32 s88, -1
	s_or_b32 s41, s41, exec_lo
	s_and_saveexec_b32 s79, s78
	s_cbranch_execz .LBB6_938
	s_branch .LBB6_942
	.p2align	6
.LBB6_941:                              ;   in Loop: Header=BB6_939 Depth=4
	s_trap 2
	ds_read_b64 v[8:9], v0
	s_andn2_b32 s78, s78, exec_lo
	s_mov_b32 s77, 0
	s_waitcnt lgkmcnt(0)
	flat_load_dword v2, v[8:9] glc dlc
	s_waitcnt vmcnt(0) lgkmcnt(0)
	buffer_gl1_inv
	buffer_gl0_inv
	v_cmp_eq_u32_e32 vcc_lo, 0, v2
	s_and_b32 s79, vcc_lo, exec_lo
	s_or_b32 s78, s78, s79
	s_mov_b32 s88, -1
	s_or_b32 s41, s41, exec_lo
	s_and_saveexec_b32 s79, s78
	s_cbranch_execz .LBB6_938
.LBB6_942:                              ;   in Loop: Header=BB6_939 Depth=4
	s_sleep 1
	s_trap 2
	ds_read_b64 v[8:9], v0
	s_waitcnt lgkmcnt(0)
	buffer_gl0_inv
	s_andn2_b32 s41, s41, exec_lo
	v_cmp_ge_u64_e32 vcc_lo, v[8:9], v[70:71]
	s_orn2_b32 s88, vcc_lo, exec_lo
	s_branch .LBB6_938
.LBB6_943:                              ;   in Loop: Header=BB6_800 Depth=3
	s_inst_prefetch 0x2
	s_or_b32 exec_lo, exec_lo, s21
	s_and_saveexec_b32 s21, s28
	s_xor_b32 s21, exec_lo, s21
	s_cbranch_execz .LBB6_945
; %bb.944:                              ;   in Loop: Header=BB6_800 Depth=3
	ds_write_b32 v0, v92
	s_trap 2
.LBB6_945:                              ;   in Loop: Header=BB6_800 Depth=3
	s_or_b32 exec_lo, exec_lo, s20
	;;#ASMSTART
	s_wakeup
	;;#ASMEND
.LBB6_946:                              ;   in Loop: Header=BB6_800 Depth=3
	s_or_b32 exec_lo, exec_lo, s19
.LBB6_947:                              ;   in Loop: Header=BB6_800 Depth=3
	s_andn2_saveexec_b32 s18, s18
	s_cbranch_execz .LBB6_949
; %bb.948:                              ;   in Loop: Header=BB6_800 Depth=3
	s_waitcnt vmcnt(0) lgkmcnt(0)
	s_waitcnt_vscnt null, 0x0
	buffer_gl1_inv
	buffer_gl0_inv
	s_barrier
.LBB6_949:                              ;   in Loop: Header=BB6_800 Depth=3
	s_or_b32 exec_lo, exec_lo, s18
	s_or_b32 exec_lo, exec_lo, s17
                                        ; implicit-def: $vgpr2
	s_and_saveexec_b32 s17, s15
	s_xor_b32 s17, exec_lo, s17
	s_cbranch_execnz .LBB6_877
.LBB6_950:                              ;   in Loop: Header=BB6_800 Depth=3
	s_andn2_saveexec_b32 s16, s17
	s_cbranch_execz .LBB6_969
.LBB6_951:                              ;   in Loop: Header=BB6_800 Depth=3
	s_and_saveexec_b32 s17, s46
	s_xor_b32 s17, exec_lo, s17
	s_cbranch_execz .LBB6_966
; %bb.952:                              ;   in Loop: Header=BB6_800 Depth=3
	s_and_saveexec_b32 s18, s11
	s_cbranch_execz .LBB6_965
; %bb.953:                              ;   in Loop: Header=BB6_800 Depth=3
	s_mov_b32 s20, exec_lo
	s_mov_b32 s19, exec_lo
	v_mbcnt_lo_u32_b32 v2, s20, 0
	;;#ASMSTART
	s_waitcnt lgkmcnt(0) vmcnt(0)
	;;#ASMEND
	v_cmpx_eq_u32_e32 0, v2
	s_cbranch_execz .LBB6_955
; %bb.954:                              ;   in Loop: Header=BB6_800 Depth=3
	s_bcnt1_i32_b32 s20, s20
	v_mov_b32_e32 v2, s20
	s_waitcnt vmcnt(0) lgkmcnt(0)
	s_waitcnt_vscnt null, 0x0
	ds_add_u64 v0, v[2:3]
	s_trap 2
.LBB6_955:                              ;   in Loop: Header=BB6_800 Depth=3
	s_or_b32 exec_lo, exec_lo, s19
	s_trap 2
	ds_read_b64 v[8:9], v0
	s_waitcnt vmcnt(0) lgkmcnt(0)
	buffer_gl0_inv
	v_add_co_u32 v70, vcc_lo, v70, v89
	v_add_co_ci_u32_e64 v71, null, 0, v71, vcc_lo
	s_mov_b32 s19, exec_lo
	v_cmpx_lt_u64_e64 v[8:9], v[70:71]
	s_cbranch_execz .LBB6_964
; %bb.956:                              ;   in Loop: Header=BB6_800 Depth=3
	s_mov_b32 s20, 0
	s_mov_b32 s41, 0
                                        ; implicit-def: $sgpr21
                                        ; implicit-def: $sgpr28
	s_inst_prefetch 0x1
	s_branch .LBB6_958
	.p2align	6
.LBB6_957:                              ;   in Loop: Header=BB6_958 Depth=4
	s_or_b32 exec_lo, exec_lo, s78
	s_and_b32 s77, exec_lo, s79
	s_or_b32 s20, s77, s20
	s_andn2_b32 s21, s21, exec_lo
	s_and_b32 s77, s28, exec_lo
	s_or_b32 s21, s21, s77
	s_andn2_b32 exec_lo, exec_lo, s20
	s_cbranch_execz .LBB6_962
.LBB6_958:                              ;   Parent Loop BB6_47 Depth=1
                                        ;     Parent Loop BB6_797 Depth=2
                                        ;       Parent Loop BB6_800 Depth=3
                                        ; =>      This Inner Loop Header: Depth=4
	s_add_i32 s41, s41, 1
	s_cmpk_lg_i32 s41, 0x2710
	s_cselect_b32 s77, -1, 0
	s_and_b32 vcc_lo, exec_lo, s77
	s_cbranch_vccz .LBB6_960
; %bb.959:                              ;   in Loop: Header=BB6_958 Depth=4
	s_mov_b32 s79, -1
	s_or_b32 s28, s28, exec_lo
	s_and_saveexec_b32 s78, s77
	s_cbranch_execz .LBB6_957
	s_branch .LBB6_961
	.p2align	6
.LBB6_960:                              ;   in Loop: Header=BB6_958 Depth=4
	s_trap 2
	ds_read_b64 v[8:9], v0
	s_andn2_b32 s77, s77, exec_lo
	s_mov_b32 s41, 0
	s_waitcnt lgkmcnt(0)
	s_waitcnt_vscnt null, 0x0
	flat_load_dword v2, v[8:9] glc dlc
	s_waitcnt vmcnt(0) lgkmcnt(0)
	buffer_gl1_inv
	buffer_gl0_inv
	v_cmp_eq_u32_e32 vcc_lo, 0, v2
	s_and_b32 s78, vcc_lo, exec_lo
	s_or_b32 s77, s77, s78
	s_mov_b32 s79, -1
	s_or_b32 s28, s28, exec_lo
	s_and_saveexec_b32 s78, s77
	s_cbranch_execz .LBB6_957
.LBB6_961:                              ;   in Loop: Header=BB6_958 Depth=4
	s_sleep 1
	s_trap 2
	ds_read_b64 v[8:9], v0
	s_waitcnt lgkmcnt(0)
	buffer_gl0_inv
	s_andn2_b32 s28, s28, exec_lo
	v_cmp_ge_u64_e32 vcc_lo, v[8:9], v[70:71]
	s_orn2_b32 s79, vcc_lo, exec_lo
	s_branch .LBB6_957
.LBB6_962:                              ;   in Loop: Header=BB6_800 Depth=3
	s_inst_prefetch 0x2
	s_or_b32 exec_lo, exec_lo, s20
	s_and_saveexec_b32 s20, s21
	s_xor_b32 s20, exec_lo, s20
	s_cbranch_execz .LBB6_964
; %bb.963:                              ;   in Loop: Header=BB6_800 Depth=3
	ds_write_b32 v0, v92
	s_trap 2
.LBB6_964:                              ;   in Loop: Header=BB6_800 Depth=3
	s_or_b32 exec_lo, exec_lo, s19
	;;#ASMSTART
	s_wakeup
	;;#ASMEND
.LBB6_965:                              ;   in Loop: Header=BB6_800 Depth=3
	s_or_b32 exec_lo, exec_lo, s18
.LBB6_966:                              ;   in Loop: Header=BB6_800 Depth=3
	s_andn2_saveexec_b32 s17, s17
	s_cbranch_execz .LBB6_968
; %bb.967:                              ;   in Loop: Header=BB6_800 Depth=3
	;;#ASMSTART
	s_waitcnt lgkmcnt(0) vmcnt(0)
	;;#ASMEND
	s_barrier
.LBB6_968:                              ;   in Loop: Header=BB6_800 Depth=3
	s_or_b32 exec_lo, exec_lo, s17
	v_and_b32_e32 v2, 16, v78
.LBB6_969:                              ;   in Loop: Header=BB6_800 Depth=3
	s_or_b32 exec_lo, exec_lo, s16
	v_cmp_ne_u32_e32 vcc_lo, 0, v2
	s_xor_b32 s16, s7, -1
	s_and_b32 s17, vcc_lo, s16
	s_and_saveexec_b32 s16, s17
	s_cbranch_execz .LBB6_971
; %bb.970:                              ;   in Loop: Header=BB6_800 Depth=3
	s_waitcnt vmcnt(0) lgkmcnt(0)
	s_waitcnt_vscnt null, 0x0
	flat_store_dword v[68:69], v92
.LBB6_971:                              ;   in Loop: Header=BB6_800 Depth=3
	s_or_b32 exec_lo, exec_lo, s16
	v_and_b32_e32 v2, 48, v78
	s_mov_b32 s16, exec_lo
	v_cmpx_ne_u32_e32 0, v2
	s_cbranch_execz .LBB6_799
; %bb.972:                              ;   in Loop: Header=BB6_800 Depth=3
	v_add_co_u32 v96, vcc_lo, v96, 2
	v_add_co_ci_u32_e64 v97, null, 0, v97, vcc_lo
	s_waitcnt vmcnt(0) lgkmcnt(0)
	s_waitcnt_vscnt null, 0x0
	flat_store_dwordx2 v[64:65], v[96:97]
	s_branch .LBB6_799
.LBB6_973:                              ;   in Loop: Header=BB6_797 Depth=2
	s_or_b32 exec_lo, exec_lo, s24
.LBB6_974:                              ;   in Loop: Header=BB6_797 Depth=2
	s_or_b32 exec_lo, exec_lo, s23
	s_mov_b32 s17, exec_lo
	v_cmpx_gt_i32_e32 2, v2
	s_cbranch_execz .LBB6_1050
; %bb.975:                              ;   in Loop: Header=BB6_797 Depth=2
	v_cmp_eq_u32_e64 s19, 0, v2
	s_mov_b32 s18, 0
	s_branch .LBB6_977
.LBB6_976:                              ;   in Loop: Header=BB6_977 Depth=3
	s_or_b32 exec_lo, exec_lo, s16
	v_add_nc_u32_e32 v14, v12, v14
	s_mov_b32 s19, 0
	s_andn2_b32 exec_lo, exec_lo, s18
	s_cbranch_execz .LBB6_1049
.LBB6_977:                              ;   Parent Loop BB6_47 Depth=1
                                        ;     Parent Loop BB6_797 Depth=2
                                        ; =>    This Loop Header: Depth=3
                                        ;         Child Loop BB6_983 Depth 4
                                        ;         Child Loop BB6_1011 Depth 4
	;; [unrolled: 1-line block ×3, first 2 shown]
	v_sub_nc_u32_e32 v2, v26, v14
	v_and_b32_e32 v8, 12, v78
	s_mov_b32 s20, exec_lo
	v_min_i32_e32 v12, v12, v2
	v_cmpx_ne_u32_e32 0, v8
	s_cbranch_execz .LBB6_1003
; %bb.978:                              ;   in Loop: Header=BB6_977 Depth=3
	v_and_b32_e32 v2, 8, v78
	s_mov_b32 s21, exec_lo
	s_waitcnt vmcnt(0) lgkmcnt(1)
	v_add_co_u32 v10, vcc_lo, v80, v2
	v_add_co_ci_u32_e64 v11, null, 0, v81, vcc_lo
	v_add_co_u32 v8, vcc_lo, v96, 2
	v_add_co_ci_u32_e64 v9, null, 0, v97, vcc_lo
	v_cmpx_lt_u64_e64 v[10:11], v[8:9]
	s_cbranch_execz .LBB6_990
; %bb.979:                              ;   in Loop: Header=BB6_977 Depth=3
	v_and_b32_e32 v10, 64, v78
	s_mov_b32 s23, 0
	s_mov_b32 s28, 0
                                        ; implicit-def: $sgpr24
                                        ; implicit-def: $sgpr25
                                        ; implicit-def: $sgpr26
	v_cmp_eq_u32_e32 vcc_lo, 0, v10
	s_branch .LBB6_983
.LBB6_980:                              ;   in Loop: Header=BB6_983 Depth=4
	s_waitcnt vmcnt(0) lgkmcnt(0)
	v_add_co_u32 v15, s16, v80, v2
	v_add_co_ci_u32_e64 v16, null, 0, v81, s16
	s_or_b32 s78, s78, exec_lo
	v_cmp_ge_u64_e64 s16, v[15:16], v[8:9]
	s_orn2_b32 s77, s16, exec_lo
.LBB6_981:                              ;   in Loop: Header=BB6_983 Depth=4
	s_or_b32 exec_lo, exec_lo, s88
	s_andn2_b32 s16, s26, exec_lo
	s_and_b32 s26, s78, exec_lo
	s_andn2_b32 s25, s25, exec_lo
	s_and_b32 s77, s77, exec_lo
	s_or_b32 s26, s16, s26
	s_or_b32 s25, s25, s77
.LBB6_982:                              ;   in Loop: Header=BB6_983 Depth=4
	s_or_b32 exec_lo, exec_lo, s41
	s_and_b32 s16, exec_lo, s25
	s_or_b32 s23, s16, s23
	s_andn2_b32 s16, s24, exec_lo
	s_and_b32 s24, s26, exec_lo
	s_or_b32 s24, s16, s24
	s_andn2_b32 exec_lo, exec_lo, s23
	s_cbranch_execz .LBB6_987
.LBB6_983:                              ;   Parent Loop BB6_47 Depth=1
                                        ;     Parent Loop BB6_797 Depth=2
                                        ;       Parent Loop BB6_977 Depth=3
                                        ; =>      This Inner Loop Header: Depth=4
	s_sleep 1
	s_waitcnt vmcnt(0) lgkmcnt(0)
	flat_load_dwordx2 v[80:81], v[64:65] glc dlc
	s_or_b32 s26, s26, exec_lo
	s_or_b32 s25, s25, exec_lo
                                        ; implicit-def: $vgpr10
	s_and_saveexec_b32 s41, vcc_lo
	s_cbranch_execz .LBB6_982
; %bb.984:                              ;   in Loop: Header=BB6_983 Depth=4
	s_cmpk_lt_i32 s28, 0x270f
	s_mov_b32 s77, -1
	s_cselect_b32 s79, -1, 0
	s_cmpk_gt_i32 s28, 0x270e
	s_cbranch_scc0 .LBB6_986
; %bb.985:                              ;   in Loop: Header=BB6_983 Depth=4
	s_trap 2
	ds_read_b64 v[10:11], v0
	s_andn2_b32 s28, s79, exec_lo
	s_mov_b32 s78, 0
	s_waitcnt vmcnt(0) lgkmcnt(0)
	s_waitcnt_vscnt null, 0x0
	flat_load_dword v10, v[10:11] glc dlc
	s_waitcnt vmcnt(0) lgkmcnt(0)
	buffer_gl1_inv
	buffer_gl0_inv
	v_cmp_eq_u32_e64 s16, 0, v10
	s_and_b32 s16, s16, exec_lo
	s_or_b32 s79, s28, s16
	s_mov_b32 s28, 0
	s_and_saveexec_b32 s88, s79
	s_cbranch_execz .LBB6_981
	s_branch .LBB6_980
.LBB6_986:                              ;   in Loop: Header=BB6_983 Depth=4
	s_add_i32 s28, s28, 1
	s_mov_b32 s78, -1
                                        ; implicit-def: $vgpr10
	s_and_saveexec_b32 s88, s79
	s_cbranch_execz .LBB6_981
	s_branch .LBB6_980
.LBB6_987:                              ;   in Loop: Header=BB6_977 Depth=3
	s_or_b32 exec_lo, exec_lo, s23
	s_xor_b32 s16, s24, -1
	s_and_saveexec_b32 s23, s16
	s_xor_b32 s16, exec_lo, s23
	s_cbranch_execz .LBB6_989
; %bb.988:                              ;   in Loop: Header=BB6_977 Depth=3
	v_or_b32_e32 v78, 64, v78
	s_waitcnt vmcnt(0) lgkmcnt(0)
	s_waitcnt_vscnt null, 0x0
	ds_write_b32 v0, v10
	s_trap 2
.LBB6_989:                              ;   in Loop: Header=BB6_977 Depth=3
	s_or_b32 exec_lo, exec_lo, s16
.LBB6_990:                              ;   in Loop: Header=BB6_977 Depth=3
	s_or_b32 exec_lo, exec_lo, s21
	v_and_b32_e32 v10, 0x108, v78
	s_mov_b32 s16, exec_lo
	;;#ASMSTART
	s_wakeup
	;;#ASMEND
	v_cmpx_ne_u32_e32 0x108, v10
	s_xor_b32 s16, exec_lo, s16
                                        ; implicit-def: $vgpr17
; %bb.991:                              ;   in Loop: Header=BB6_977 Depth=3
	v_and_b32_e32 v17, 7, v96
                                        ; implicit-def: $vgpr96_vgpr97
; %bb.992:                              ;   in Loop: Header=BB6_977 Depth=3
	s_andn2_saveexec_b32 s16, s16
	s_cbranch_execz .LBB6_994
; %bb.993:                              ;   in Loop: Header=BB6_977 Depth=3
	v_and_b32_e32 v17, 7, v96
	v_ashrrev_i32_e32 v13, 31, v12
	v_mad_u64_u32 v[10:11], null, v17, 24, v[6:7]
	v_lshlrev_b64 v[15:16], 3, v[12:13]
	flat_store_dwordx2 v[10:11], v[15:16] offset:8
.LBB6_994:                              ;   in Loop: Header=BB6_977 Depth=3
	s_or_b32 exec_lo, exec_lo, s16
	v_and_b32_e32 v10, 0x100, v78
	s_mov_b32 s16, -1
	v_cmp_ne_u32_e32 vcc_lo, 0, v10
                                        ; implicit-def: $vgpr10_vgpr11
	s_and_saveexec_b32 s21, vcc_lo
	s_cbranch_execz .LBB6_998
; %bb.995:                              ;   in Loop: Header=BB6_977 Depth=3
	v_mad_u64_u32 v[15:16], null, v17, 24, v[6:7]
	v_mov_b32_e32 v10, v16
	v_mad_u64_u32 v[10:11], null, v3, 24, v[10:11]
	v_mov_b32_e32 v16, v10
	flat_load_dword v10, v[15:16]
	s_waitcnt vmcnt(0) lgkmcnt(0)
	v_cmp_eq_u32_e64 s16, 1, v10
	v_cmp_ne_u32_e32 vcc_lo, 1, v10
                                        ; implicit-def: $vgpr10_vgpr11
	s_and_saveexec_b32 s23, s16
	s_cbranch_execz .LBB6_997
; %bb.996:                              ;   in Loop: Header=BB6_977 Depth=3
	flat_load_dword v10, v[15:16] offset:4 glc dlc
	s_waitcnt vmcnt(0) lgkmcnt(0)
	v_ashrrev_i32_e32 v11, 31, v10
	v_lshrrev_b64 v[10:11], 3, v[10:11]
.LBB6_997:                              ;   in Loop: Header=BB6_977 Depth=3
	s_or_b32 exec_lo, exec_lo, s23
	s_orn2_b32 s16, vcc_lo, exec_lo
.LBB6_998:                              ;   in Loop: Header=BB6_977 Depth=3
	s_or_b32 exec_lo, exec_lo, s21
	s_and_saveexec_b32 s21, s16
; %bb.999:                              ;   in Loop: Header=BB6_977 Depth=3
	v_mul_lo_u32 v13, v3, v79
	v_mul_lo_u32 v15, v17, v88
	v_mad_u64_u32 v[10:11], null, v17, v79, 0
	v_add3_u32 v11, v11, v15, v13
; %bb.1000:                             ;   in Loop: Header=BB6_977 Depth=3
	s_or_b32 exec_lo, exec_lo, s21
	v_cmp_eq_u32_e32 vcc_lo, 0, v2
	v_lshlrev_b64 v[10:11], 3, v[10:11]
	v_and_b32_e32 v13, 0x2000, v78
	s_mov_b32 s16, exec_lo
	v_cndmask_b32_e32 v2, 0xd0, v94, vcc_lo
	v_add_co_u32 v10, vcc_lo, v66, v10
	v_add_co_ci_u32_e64 v11, null, v67, v11, vcc_lo
	v_add_nc_u32_e32 v2, v0, v2
	ds_write_b64 v2, v[10:11] offset:584
	v_cmpx_ne_u32_e32 0, v13
	s_cbranch_execz .LBB6_1002
; %bb.1001:                             ;   in Loop: Header=BB6_977 Depth=3
	ds_read_b64 v[10:11], v0 offset:872
	s_waitcnt lgkmcnt(0)
	v_add_co_u32 v10, vcc_lo, v10, 1
	v_add_co_ci_u32_e64 v11, null, 0, v11, vcc_lo
	ds_write_b64 v0, v[10:11] offset:872
.LBB6_1002:                             ;   in Loop: Header=BB6_977 Depth=3
	s_or_b32 exec_lo, exec_lo, s16
	v_mov_b32_e32 v97, v9
	v_mov_b32_e32 v96, v8
.LBB6_1003:                             ;   in Loop: Header=BB6_977 Depth=3
	s_or_b32 exec_lo, exec_lo, s20
	s_xor_b32 s16, s19, -1
	s_and_b32 s16, exec_lo, s16
	s_or_b32 s18, s16, s18
	s_and_saveexec_b32 s16, s6
	s_cbranch_execz .LBB6_1022
; %bb.1004:                             ;   in Loop: Header=BB6_977 Depth=3
	s_and_saveexec_b32 s19, s46
	s_xor_b32 s19, exec_lo, s19
	s_cbranch_execz .LBB6_1019
; %bb.1005:                             ;   in Loop: Header=BB6_977 Depth=3
	s_and_saveexec_b32 s20, s11
	s_cbranch_execz .LBB6_1018
; %bb.1006:                             ;   in Loop: Header=BB6_977 Depth=3
	s_mov_b32 s23, exec_lo
	s_mov_b32 s21, exec_lo
	v_mbcnt_lo_u32_b32 v2, s23, 0
	s_waitcnt vmcnt(0) lgkmcnt(0)
	s_waitcnt_vscnt null, 0x0
	buffer_gl1_inv
	buffer_gl0_inv
	v_cmpx_eq_u32_e32 0, v2
	s_cbranch_execz .LBB6_1008
; %bb.1007:                             ;   in Loop: Header=BB6_977 Depth=3
	s_bcnt1_i32_b32 s23, s23
	v_mov_b32_e32 v2, s23
	ds_add_u64 v0, v[2:3]
	s_trap 2
.LBB6_1008:                             ;   in Loop: Header=BB6_977 Depth=3
	s_or_b32 exec_lo, exec_lo, s21
	s_trap 2
	ds_read_b64 v[8:9], v0
	s_waitcnt lgkmcnt(0)
	buffer_gl0_inv
	v_add_co_u32 v70, vcc_lo, v70, v89
	v_add_co_ci_u32_e64 v71, null, 0, v71, vcc_lo
	s_mov_b32 s21, exec_lo
	v_cmpx_lt_u64_e64 v[8:9], v[70:71]
	s_cbranch_execz .LBB6_1017
; %bb.1009:                             ;   in Loop: Header=BB6_977 Depth=3
	s_mov_b32 s23, 0
	s_mov_b32 s26, 0
                                        ; implicit-def: $sgpr24
                                        ; implicit-def: $sgpr25
	s_inst_prefetch 0x1
	s_branch .LBB6_1011
	.p2align	6
.LBB6_1010:                             ;   in Loop: Header=BB6_1011 Depth=4
	s_or_b32 exec_lo, exec_lo, s41
	s_and_b32 s28, exec_lo, s77
	s_or_b32 s23, s28, s23
	s_andn2_b32 s24, s24, exec_lo
	s_and_b32 s28, s25, exec_lo
	s_or_b32 s24, s24, s28
	s_andn2_b32 exec_lo, exec_lo, s23
	s_cbranch_execz .LBB6_1015
.LBB6_1011:                             ;   Parent Loop BB6_47 Depth=1
                                        ;     Parent Loop BB6_797 Depth=2
                                        ;       Parent Loop BB6_977 Depth=3
                                        ; =>      This Inner Loop Header: Depth=4
	s_add_i32 s26, s26, 1
	s_cmpk_lg_i32 s26, 0x2710
	s_cselect_b32 s28, -1, 0
	s_and_b32 vcc_lo, exec_lo, s28
	s_cbranch_vccz .LBB6_1013
; %bb.1012:                             ;   in Loop: Header=BB6_1011 Depth=4
	s_mov_b32 s77, -1
	s_or_b32 s25, s25, exec_lo
	s_and_saveexec_b32 s41, s28
	s_cbranch_execz .LBB6_1010
	s_branch .LBB6_1014
	.p2align	6
.LBB6_1013:                             ;   in Loop: Header=BB6_1011 Depth=4
	s_trap 2
	ds_read_b64 v[8:9], v0
	s_andn2_b32 s28, s28, exec_lo
	s_mov_b32 s26, 0
	s_waitcnt lgkmcnt(0)
	flat_load_dword v2, v[8:9] glc dlc
	s_waitcnt vmcnt(0) lgkmcnt(0)
	buffer_gl1_inv
	buffer_gl0_inv
	v_cmp_eq_u32_e32 vcc_lo, 0, v2
	s_and_b32 s41, vcc_lo, exec_lo
	s_or_b32 s28, s28, s41
	s_mov_b32 s77, -1
	s_or_b32 s25, s25, exec_lo
	s_and_saveexec_b32 s41, s28
	s_cbranch_execz .LBB6_1010
.LBB6_1014:                             ;   in Loop: Header=BB6_1011 Depth=4
	s_sleep 1
	s_trap 2
	ds_read_b64 v[8:9], v0
	s_waitcnt lgkmcnt(0)
	buffer_gl0_inv
	s_andn2_b32 s25, s25, exec_lo
	v_cmp_ge_u64_e32 vcc_lo, v[8:9], v[70:71]
	s_orn2_b32 s77, vcc_lo, exec_lo
	s_branch .LBB6_1010
.LBB6_1015:                             ;   in Loop: Header=BB6_977 Depth=3
	s_inst_prefetch 0x2
	s_or_b32 exec_lo, exec_lo, s23
	s_and_saveexec_b32 s23, s24
	s_xor_b32 s23, exec_lo, s23
	s_cbranch_execz .LBB6_1017
; %bb.1016:                             ;   in Loop: Header=BB6_977 Depth=3
	ds_write_b32 v0, v92
	s_trap 2
.LBB6_1017:                             ;   in Loop: Header=BB6_977 Depth=3
	s_or_b32 exec_lo, exec_lo, s21
	;;#ASMSTART
	s_wakeup
	;;#ASMEND
.LBB6_1018:                             ;   in Loop: Header=BB6_977 Depth=3
	s_or_b32 exec_lo, exec_lo, s20
.LBB6_1019:                             ;   in Loop: Header=BB6_977 Depth=3
	s_andn2_saveexec_b32 s19, s19
	s_cbranch_execz .LBB6_1021
; %bb.1020:                             ;   in Loop: Header=BB6_977 Depth=3
	s_waitcnt vmcnt(0) lgkmcnt(0)
	s_waitcnt_vscnt null, 0x0
	buffer_gl1_inv
	buffer_gl0_inv
	s_barrier
.LBB6_1021:                             ;   in Loop: Header=BB6_977 Depth=3
	s_or_b32 exec_lo, exec_lo, s19
.LBB6_1022:                             ;   in Loop: Header=BB6_977 Depth=3
	s_or_b32 exec_lo, exec_lo, s16
                                        ; implicit-def: $vgpr2
	s_and_saveexec_b32 s16, s15
	s_xor_b32 s19, exec_lo, s16
	s_cbranch_execz .LBB6_1026
; %bb.1023:                             ;   in Loop: Header=BB6_977 Depth=3
	s_trap 2
	ds_read_b32 v2, v0
	v_cmp_lt_i32_e32 vcc_lo, 0, v12
	s_waitcnt lgkmcnt(0)
	v_readfirstlane_b32 s16, v2
	v_and_b32_e32 v2, 16, v78
	s_cmp_eq_u32 s16, 0
	v_cmp_ne_u32_e64 s16, 0, v2
	s_cselect_b32 s20, -1, 0
	v_and_b32_e32 v2, 16, v78
	s_and_b32 s20, vcc_lo, s20
	s_and_b32 s20, s16, s20
	s_and_saveexec_b32 s16, s20
	s_cbranch_execz .LBB6_1025
; %bb.1024:                             ;   in Loop: Header=BB6_977 Depth=3
	v_mov_b32_e32 v2, 1
	s_waitcnt vmcnt(0)
	s_waitcnt_vscnt null, 0x0
	buffer_gl1_inv
	buffer_gl0_inv
.LBB6_1025:                             ;   in Loop: Header=BB6_977 Depth=3
	s_or_b32 exec_lo, exec_lo, s16
	s_andn2_saveexec_b32 s16, s19
	s_cbranch_execz .LBB6_1045
	s_branch .LBB6_1027
.LBB6_1026:                             ;   in Loop: Header=BB6_977 Depth=3
	s_andn2_saveexec_b32 s16, s19
	s_cbranch_execz .LBB6_1045
.LBB6_1027:                             ;   in Loop: Header=BB6_977 Depth=3
	s_and_saveexec_b32 s19, s46
	s_xor_b32 s19, exec_lo, s19
	s_cbranch_execz .LBB6_1042
; %bb.1028:                             ;   in Loop: Header=BB6_977 Depth=3
	s_and_saveexec_b32 s20, s11
	s_cbranch_execz .LBB6_1041
; %bb.1029:                             ;   in Loop: Header=BB6_977 Depth=3
	s_mov_b32 s23, exec_lo
	s_mov_b32 s21, exec_lo
	v_mbcnt_lo_u32_b32 v2, s23, 0
	;;#ASMSTART
	s_waitcnt lgkmcnt(0) vmcnt(0)
	;;#ASMEND
	v_cmpx_eq_u32_e32 0, v2
	s_cbranch_execz .LBB6_1031
; %bb.1030:                             ;   in Loop: Header=BB6_977 Depth=3
	s_bcnt1_i32_b32 s23, s23
	v_mov_b32_e32 v2, s23
	s_waitcnt vmcnt(0) lgkmcnt(0)
	s_waitcnt_vscnt null, 0x0
	ds_add_u64 v0, v[2:3]
	s_trap 2
.LBB6_1031:                             ;   in Loop: Header=BB6_977 Depth=3
	s_or_b32 exec_lo, exec_lo, s21
	s_trap 2
	ds_read_b64 v[8:9], v0
	s_waitcnt vmcnt(0) lgkmcnt(0)
	buffer_gl0_inv
	v_add_co_u32 v70, vcc_lo, v70, v89
	v_add_co_ci_u32_e64 v71, null, 0, v71, vcc_lo
	s_mov_b32 s21, exec_lo
	v_cmpx_lt_u64_e64 v[8:9], v[70:71]
	s_cbranch_execz .LBB6_1040
; %bb.1032:                             ;   in Loop: Header=BB6_977 Depth=3
	s_mov_b32 s23, 0
	s_mov_b32 s26, 0
                                        ; implicit-def: $sgpr24
                                        ; implicit-def: $sgpr25
	s_inst_prefetch 0x1
	s_branch .LBB6_1034
	.p2align	6
.LBB6_1033:                             ;   in Loop: Header=BB6_1034 Depth=4
	s_or_b32 exec_lo, exec_lo, s41
	s_and_b32 s28, exec_lo, s77
	s_or_b32 s23, s28, s23
	s_andn2_b32 s24, s24, exec_lo
	s_and_b32 s28, s25, exec_lo
	s_or_b32 s24, s24, s28
	s_andn2_b32 exec_lo, exec_lo, s23
	s_cbranch_execz .LBB6_1038
.LBB6_1034:                             ;   Parent Loop BB6_47 Depth=1
                                        ;     Parent Loop BB6_797 Depth=2
                                        ;       Parent Loop BB6_977 Depth=3
                                        ; =>      This Inner Loop Header: Depth=4
	s_add_i32 s26, s26, 1
	s_cmpk_lg_i32 s26, 0x2710
	s_cselect_b32 s28, -1, 0
	s_and_b32 vcc_lo, exec_lo, s28
	s_cbranch_vccz .LBB6_1036
; %bb.1035:                             ;   in Loop: Header=BB6_1034 Depth=4
	s_mov_b32 s77, -1
	s_or_b32 s25, s25, exec_lo
	s_and_saveexec_b32 s41, s28
	s_cbranch_execz .LBB6_1033
	s_branch .LBB6_1037
	.p2align	6
.LBB6_1036:                             ;   in Loop: Header=BB6_1034 Depth=4
	s_trap 2
	ds_read_b64 v[8:9], v0
	s_andn2_b32 s28, s28, exec_lo
	s_mov_b32 s26, 0
	s_waitcnt lgkmcnt(0)
	s_waitcnt_vscnt null, 0x0
	flat_load_dword v2, v[8:9] glc dlc
	s_waitcnt vmcnt(0) lgkmcnt(0)
	buffer_gl1_inv
	buffer_gl0_inv
	v_cmp_eq_u32_e32 vcc_lo, 0, v2
	s_and_b32 s41, vcc_lo, exec_lo
	s_or_b32 s28, s28, s41
	s_mov_b32 s77, -1
	s_or_b32 s25, s25, exec_lo
	s_and_saveexec_b32 s41, s28
	s_cbranch_execz .LBB6_1033
.LBB6_1037:                             ;   in Loop: Header=BB6_1034 Depth=4
	s_sleep 1
	s_trap 2
	ds_read_b64 v[8:9], v0
	s_waitcnt lgkmcnt(0)
	buffer_gl0_inv
	s_andn2_b32 s25, s25, exec_lo
	v_cmp_ge_u64_e32 vcc_lo, v[8:9], v[70:71]
	s_orn2_b32 s77, vcc_lo, exec_lo
	s_branch .LBB6_1033
.LBB6_1038:                             ;   in Loop: Header=BB6_977 Depth=3
	s_inst_prefetch 0x2
	s_or_b32 exec_lo, exec_lo, s23
	s_and_saveexec_b32 s23, s24
	s_xor_b32 s23, exec_lo, s23
	s_cbranch_execz .LBB6_1040
; %bb.1039:                             ;   in Loop: Header=BB6_977 Depth=3
	ds_write_b32 v0, v92
	s_trap 2
.LBB6_1040:                             ;   in Loop: Header=BB6_977 Depth=3
	s_or_b32 exec_lo, exec_lo, s21
	;;#ASMSTART
	s_wakeup
	;;#ASMEND
.LBB6_1041:                             ;   in Loop: Header=BB6_977 Depth=3
	s_or_b32 exec_lo, exec_lo, s20
.LBB6_1042:                             ;   in Loop: Header=BB6_977 Depth=3
	s_andn2_saveexec_b32 s19, s19
	s_cbranch_execz .LBB6_1044
; %bb.1043:                             ;   in Loop: Header=BB6_977 Depth=3
	;;#ASMSTART
	s_waitcnt lgkmcnt(0) vmcnt(0)
	;;#ASMEND
	s_barrier
.LBB6_1044:                             ;   in Loop: Header=BB6_977 Depth=3
	s_or_b32 exec_lo, exec_lo, s19
	v_and_b32_e32 v2, 16, v78
.LBB6_1045:                             ;   in Loop: Header=BB6_977 Depth=3
	s_or_b32 exec_lo, exec_lo, s16
	v_cmp_ne_u32_e32 vcc_lo, 0, v2
	s_xor_b32 s16, s7, -1
	s_and_b32 s19, vcc_lo, s16
	s_and_saveexec_b32 s16, s19
	s_cbranch_execz .LBB6_1047
; %bb.1046:                             ;   in Loop: Header=BB6_977 Depth=3
	s_waitcnt vmcnt(0) lgkmcnt(0)
	s_waitcnt_vscnt null, 0x0
	flat_store_dword v[68:69], v92
.LBB6_1047:                             ;   in Loop: Header=BB6_977 Depth=3
	s_or_b32 exec_lo, exec_lo, s16
	v_and_b32_e32 v2, 48, v78
	s_mov_b32 s16, exec_lo
	v_cmpx_ne_u32_e32 0, v2
	s_cbranch_execz .LBB6_976
; %bb.1048:                             ;   in Loop: Header=BB6_977 Depth=3
	v_add_co_u32 v96, vcc_lo, v96, 2
	v_add_co_ci_u32_e64 v97, null, 0, v97, vcc_lo
	s_waitcnt vmcnt(0) lgkmcnt(0)
	s_waitcnt_vscnt null, 0x0
	flat_store_dwordx2 v[64:65], v[96:97]
	s_branch .LBB6_976
.LBB6_1049:                             ;   in Loop: Header=BB6_797 Depth=2
	s_or_b32 exec_lo, exec_lo, s18
.LBB6_1050:                             ;   in Loop: Header=BB6_797 Depth=2
	s_or_b32 exec_lo, exec_lo, s17
	s_add_i32 s16, s22, 1
	s_cmp_eq_u32 s22, s63
	s_cbranch_scc1 .LBB6_1052
; %bb.1051:                             ;   in Loop: Header=BB6_797 Depth=2
	s_mov_b32 s22, s16
	s_branch .LBB6_797
.LBB6_1052:                             ;   in Loop: Header=BB6_47 Depth=1
	v_mul_lo_u32 v2, v87, s73
	v_mul_lo_u32 v8, v86, s76
	v_mad_u64_u32 v[9:10], null, v86, s73, 0
	v_add3_u32 v10, v10, v8, v2
	v_sub_co_u32 v11, vcc_lo, v98, v9
	v_sub_co_ci_u32_e64 v12, null, v99, v10, vcc_lo
	v_cmp_lt_i64_e32 vcc_lo, v[86:87], v[11:12]
	v_cndmask_b32_e32 v8, v11, v86, vcc_lo
	v_max_i32_e32 v20, 0, v8
	v_cmp_lt_i32_e32 vcc_lo, 0, v8
	v_mov_b32_e32 v8, 0
	v_add_nc_u32_e32 v2, 31, v20
	s_and_b32 s16, s72, vcc_lo
	v_lshrrev_b32_e32 v2, 1, v2
	v_and_b32_e32 v11, 0x3ffffff0, v2
	v_mov_b32_e32 v2, 0
	v_max_i32_e32 v21, s60, v11
	s_and_saveexec_b32 s18, s16
	s_cbranch_execz .LBB6_1190
; %bb.1053:                             ;   in Loop: Header=BB6_47 Depth=1
	v_add_co_u32 v8, vcc_lo, v9, v100
	v_add_co_ci_u32_e64 v9, null, v10, v101, vcc_lo
	s_mov_b32 s21, 1
	s_mov_b32 s20, -1
	s_mov_b32 s19, 0
	v_lshlrev_b64 v[10:11], 3, v[8:9]
	v_mov_b32_e32 v8, 0
	s_branch .LBB6_1055
.LBB6_1054:                             ;   in Loop: Header=BB6_1055 Depth=2
	s_or_b32 exec_lo, exec_lo, s16
	v_add_nc_u32_e32 v8, v21, v8
	s_xor_b32 s16, s20, -1
	v_mov_b32_e32 v2, s21
	s_mov_b32 s20, 0
	s_mov_b32 s21, 2
	v_cmp_ge_i32_e32 vcc_lo, v8, v20
	s_or_b32 s16, s16, vcc_lo
	s_and_b32 s16, exec_lo, s16
	s_or_b32 s19, s16, s19
	s_andn2_b32 exec_lo, exec_lo, s19
	s_cbranch_execz .LBB6_1189
.LBB6_1055:                             ;   Parent Loop BB6_47 Depth=1
                                        ; =>  This Loop Header: Depth=2
                                        ;       Child Loop BB6_1063 Depth 3
                                        ;       Child Loop BB6_1087 Depth 3
	;; [unrolled: 1-line block ×9, first 2 shown]
	s_and_saveexec_b32 s17, s4
	s_cbranch_execz .LBB6_1057
; %bb.1056:                             ;   in Loop: Header=BB6_1055 Depth=2
	s_trap 2
	ds_read_b128 v[12:15], v0
	v_ashrrev_i32_e32 v9, 31, v8
	v_lshlrev_b64 v[16:17], 3, v[8:9]
	s_waitcnt lgkmcnt(0)
	v_add_co_u32 v2, vcc_lo, v14, v10
	v_add_co_ci_u32_e64 v9, null, v15, v11, vcc_lo
	v_add_co_u32 v12, vcc_lo, v12, v10
	v_add_co_ci_u32_e64 v13, null, v13, v11, vcc_lo
	;; [unrolled: 2-line block ×3, first 2 shown]
	v_cmp_ne_u64_e32 vcc_lo, 0, v[14:15]
	v_add_co_u32 v12, s16, v12, v16
	v_add_co_ci_u32_e64 v13, null, v13, v17, s16
	v_cndmask_b32_e32 v15, 0, v9, vcc_lo
	v_cndmask_b32_e32 v14, 0, v2, vcc_lo
	ds_write_b64 v0, v[12:13]
	ds_write_b64 v0, v[14:15]
.LBB6_1057:                             ;   in Loop: Header=BB6_1055 Depth=2
	s_or_b32 exec_lo, exec_lo, s17
	v_and_b32_e32 v2, 4, v78
	s_mov_b32 s17, exec_lo
	v_cmpx_ne_u32_e32 0, v2
	s_cbranch_execz .LBB6_1079
; %bb.1058:                             ;   in Loop: Header=BB6_1055 Depth=2
	v_add_co_u32 v12, vcc_lo, v96, 2
	v_add_co_ci_u32_e64 v13, null, 0, v97, vcc_lo
	s_mov_b32 s22, exec_lo
	s_waitcnt vmcnt(0) lgkmcnt(1)
	v_cmpx_lt_u64_e64 v[80:81], v[12:13]
	s_cbranch_execz .LBB6_1070
; %bb.1059:                             ;   in Loop: Header=BB6_1055 Depth=2
	v_and_b32_e32 v2, 64, v78
	s_mov_b32 s23, 0
	s_mov_b32 s28, 0
                                        ; implicit-def: $sgpr24
                                        ; implicit-def: $sgpr25
                                        ; implicit-def: $sgpr26
	v_cmp_eq_u32_e32 vcc_lo, 0, v2
	s_branch .LBB6_1063
.LBB6_1060:                             ;   in Loop: Header=BB6_1063 Depth=3
	s_waitcnt vmcnt(0) lgkmcnt(0)
	v_cmp_ge_u64_e64 s16, v[80:81], v[12:13]
	s_or_b32 s78, s78, exec_lo
	s_orn2_b32 s77, s16, exec_lo
.LBB6_1061:                             ;   in Loop: Header=BB6_1063 Depth=3
	s_or_b32 exec_lo, exec_lo, s88
	s_andn2_b32 s16, s26, exec_lo
	s_and_b32 s26, s78, exec_lo
	s_andn2_b32 s25, s25, exec_lo
	s_and_b32 s77, s77, exec_lo
	s_or_b32 s26, s16, s26
	s_or_b32 s25, s25, s77
.LBB6_1062:                             ;   in Loop: Header=BB6_1063 Depth=3
	s_or_b32 exec_lo, exec_lo, s41
	s_and_b32 s16, exec_lo, s25
	s_or_b32 s23, s16, s23
	s_andn2_b32 s16, s24, exec_lo
	s_and_b32 s24, s26, exec_lo
	s_or_b32 s24, s16, s24
	s_andn2_b32 exec_lo, exec_lo, s23
	s_cbranch_execz .LBB6_1067
.LBB6_1063:                             ;   Parent Loop BB6_47 Depth=1
                                        ;     Parent Loop BB6_1055 Depth=2
                                        ; =>    This Inner Loop Header: Depth=3
	s_sleep 1
	s_waitcnt vmcnt(0) lgkmcnt(0)
	flat_load_dwordx2 v[80:81], v[64:65] glc dlc
	s_or_b32 s26, s26, exec_lo
	s_or_b32 s25, s25, exec_lo
                                        ; implicit-def: $vgpr2
	s_and_saveexec_b32 s41, vcc_lo
	s_cbranch_execz .LBB6_1062
; %bb.1064:                             ;   in Loop: Header=BB6_1063 Depth=3
	s_cmpk_lt_i32 s28, 0x270f
	s_mov_b32 s77, -1
	s_cselect_b32 s79, -1, 0
	s_cmpk_gt_i32 s28, 0x270e
	s_cbranch_scc0 .LBB6_1066
; %bb.1065:                             ;   in Loop: Header=BB6_1063 Depth=3
	s_trap 2
	ds_read_b64 v[14:15], v0
	s_andn2_b32 s28, s79, exec_lo
	s_mov_b32 s78, 0
	s_waitcnt vmcnt(0) lgkmcnt(0)
	s_waitcnt_vscnt null, 0x0
	flat_load_dword v2, v[14:15] glc dlc
	s_waitcnt vmcnt(0) lgkmcnt(0)
	buffer_gl1_inv
	buffer_gl0_inv
	v_cmp_eq_u32_e64 s16, 0, v2
	s_and_b32 s16, s16, exec_lo
	s_or_b32 s79, s28, s16
	s_mov_b32 s28, 0
	s_and_saveexec_b32 s88, s79
	s_cbranch_execz .LBB6_1061
	s_branch .LBB6_1060
.LBB6_1066:                             ;   in Loop: Header=BB6_1063 Depth=3
	s_add_i32 s28, s28, 1
	s_mov_b32 s78, -1
                                        ; implicit-def: $vgpr2
	s_and_saveexec_b32 s88, s79
	s_cbranch_execz .LBB6_1061
	s_branch .LBB6_1060
.LBB6_1067:                             ;   in Loop: Header=BB6_1055 Depth=2
	s_or_b32 exec_lo, exec_lo, s23
	s_xor_b32 s16, s24, -1
	s_and_saveexec_b32 s23, s16
	s_xor_b32 s16, exec_lo, s23
	s_cbranch_execz .LBB6_1069
; %bb.1068:                             ;   in Loop: Header=BB6_1055 Depth=2
	v_or_b32_e32 v78, 64, v78
	s_waitcnt vmcnt(0) lgkmcnt(0)
	s_waitcnt_vscnt null, 0x0
	ds_write_b32 v0, v2
	s_trap 2
.LBB6_1069:                             ;   in Loop: Header=BB6_1055 Depth=2
	s_or_b32 exec_lo, exec_lo, s16
.LBB6_1070:                             ;   in Loop: Header=BB6_1055 Depth=2
	s_or_b32 exec_lo, exec_lo, s22
	v_and_b32_e32 v2, 0x100, v78
	s_mov_b32 s16, -1
	;;#ASMSTART
	s_wakeup
	;;#ASMEND
                                        ; implicit-def: $vgpr14_vgpr15
	v_cmp_ne_u32_e32 vcc_lo, 0, v2
	v_and_b32_e32 v2, 7, v96
	s_and_saveexec_b32 s22, vcc_lo
	s_cbranch_execz .LBB6_1074
; %bb.1071:                             ;   in Loop: Header=BB6_1055 Depth=2
	v_mad_u64_u32 v[16:17], null, v2, 24, v[6:7]
	s_mov_b32 s23, exec_lo
                                        ; implicit-def: $vgpr14_vgpr15
	flat_load_dword v9, v[16:17]
	s_waitcnt vmcnt(0) lgkmcnt(0)
	v_cmp_ne_u32_e32 vcc_lo, 1, v9
	v_cmpx_eq_u32_e32 1, v9
	s_cbranch_execz .LBB6_1073
; %bb.1072:                             ;   in Loop: Header=BB6_1055 Depth=2
	flat_load_dword v14, v[16:17] offset:4 glc dlc
	s_waitcnt vmcnt(0) lgkmcnt(0)
	v_ashrrev_i32_e32 v15, 31, v14
	v_lshrrev_b64 v[14:15], 3, v[14:15]
.LBB6_1073:                             ;   in Loop: Header=BB6_1055 Depth=2
	s_or_b32 exec_lo, exec_lo, s23
	s_orn2_b32 s16, vcc_lo, exec_lo
.LBB6_1074:                             ;   in Loop: Header=BB6_1055 Depth=2
	s_or_b32 exec_lo, exec_lo, s22
	s_and_saveexec_b32 s22, s16
; %bb.1075:                             ;   in Loop: Header=BB6_1055 Depth=2
	v_mad_i64_i32 v[14:15], null, v2, v79, 0
; %bb.1076:                             ;   in Loop: Header=BB6_1055 Depth=2
	s_or_b32 exec_lo, exec_lo, s22
	v_lshlrev_b64 v[14:15], 3, v[14:15]
	v_and_b32_e32 v2, 0x2000, v78
	s_mov_b32 s16, exec_lo
	v_add_co_u32 v14, vcc_lo, v66, v14
	v_add_co_ci_u32_e64 v15, null, v67, v15, vcc_lo
	ds_write_b64 v0, v[14:15] offset:720
	v_cmpx_ne_u32_e32 0, v2
	s_cbranch_execz .LBB6_1078
; %bb.1077:                             ;   in Loop: Header=BB6_1055 Depth=2
	ds_read_b64 v[14:15], v0 offset:872
	s_waitcnt lgkmcnt(0)
	v_add_co_u32 v14, vcc_lo, v14, 1
	v_add_co_ci_u32_e64 v15, null, 0, v15, vcc_lo
	ds_write_b64 v0, v[14:15] offset:872
.LBB6_1078:                             ;   in Loop: Header=BB6_1055 Depth=2
	s_or_b32 exec_lo, exec_lo, s16
	v_mov_b32_e32 v97, v13
	v_mov_b32_e32 v96, v12
.LBB6_1079:                             ;   in Loop: Header=BB6_1055 Depth=2
	s_or_b32 exec_lo, exec_lo, s17
	s_and_saveexec_b32 s16, s6
	s_cbranch_execz .LBB6_1098
; %bb.1080:                             ;   in Loop: Header=BB6_1055 Depth=2
	s_and_saveexec_b32 s17, s46
	s_xor_b32 s17, exec_lo, s17
	s_cbranch_execz .LBB6_1095
; %bb.1081:                             ;   in Loop: Header=BB6_1055 Depth=2
	s_and_saveexec_b32 s22, s11
	s_cbranch_execz .LBB6_1094
; %bb.1082:                             ;   in Loop: Header=BB6_1055 Depth=2
	s_mov_b32 s24, exec_lo
	s_mov_b32 s23, exec_lo
	v_mbcnt_lo_u32_b32 v2, s24, 0
	s_waitcnt vmcnt(0) lgkmcnt(0)
	s_waitcnt_vscnt null, 0x0
	buffer_gl1_inv
	buffer_gl0_inv
	v_cmpx_eq_u32_e32 0, v2
	s_cbranch_execz .LBB6_1084
; %bb.1083:                             ;   in Loop: Header=BB6_1055 Depth=2
	s_bcnt1_i32_b32 s24, s24
	v_mov_b32_e32 v2, s24
	ds_add_u64 v0, v[2:3]
	s_trap 2
.LBB6_1084:                             ;   in Loop: Header=BB6_1055 Depth=2
	s_or_b32 exec_lo, exec_lo, s23
	s_trap 2
	ds_read_b64 v[12:13], v0
	s_waitcnt lgkmcnt(0)
	buffer_gl0_inv
	v_add_co_u32 v70, vcc_lo, v70, v89
	v_add_co_ci_u32_e64 v71, null, 0, v71, vcc_lo
	s_mov_b32 s23, exec_lo
	v_cmpx_lt_u64_e64 v[12:13], v[70:71]
	s_cbranch_execz .LBB6_1093
; %bb.1085:                             ;   in Loop: Header=BB6_1055 Depth=2
	s_mov_b32 s24, 0
	s_mov_b32 s28, 0
                                        ; implicit-def: $sgpr25
                                        ; implicit-def: $sgpr26
	s_inst_prefetch 0x1
	s_branch .LBB6_1087
	.p2align	6
.LBB6_1086:                             ;   in Loop: Header=BB6_1087 Depth=3
	s_or_b32 exec_lo, exec_lo, s77
	s_and_b32 s41, exec_lo, s78
	s_or_b32 s24, s41, s24
	s_andn2_b32 s25, s25, exec_lo
	s_and_b32 s41, s26, exec_lo
	s_or_b32 s25, s25, s41
	s_andn2_b32 exec_lo, exec_lo, s24
	s_cbranch_execz .LBB6_1091
.LBB6_1087:                             ;   Parent Loop BB6_47 Depth=1
                                        ;     Parent Loop BB6_1055 Depth=2
                                        ; =>    This Inner Loop Header: Depth=3
	s_add_i32 s28, s28, 1
	s_cmpk_lg_i32 s28, 0x2710
	s_cselect_b32 s41, -1, 0
	s_and_b32 vcc_lo, exec_lo, s41
	s_cbranch_vccz .LBB6_1089
; %bb.1088:                             ;   in Loop: Header=BB6_1087 Depth=3
	s_mov_b32 s78, -1
	s_or_b32 s26, s26, exec_lo
	s_and_saveexec_b32 s77, s41
	s_cbranch_execz .LBB6_1086
	s_branch .LBB6_1090
	.p2align	6
.LBB6_1089:                             ;   in Loop: Header=BB6_1087 Depth=3
	s_trap 2
	ds_read_b64 v[12:13], v0
	s_andn2_b32 s41, s41, exec_lo
	s_mov_b32 s28, 0
	s_waitcnt lgkmcnt(0)
	flat_load_dword v2, v[12:13] glc dlc
	s_waitcnt vmcnt(0) lgkmcnt(0)
	buffer_gl1_inv
	buffer_gl0_inv
	v_cmp_eq_u32_e32 vcc_lo, 0, v2
	s_and_b32 s77, vcc_lo, exec_lo
	s_or_b32 s41, s41, s77
	s_mov_b32 s78, -1
	s_or_b32 s26, s26, exec_lo
	s_and_saveexec_b32 s77, s41
	s_cbranch_execz .LBB6_1086
.LBB6_1090:                             ;   in Loop: Header=BB6_1087 Depth=3
	s_sleep 1
	s_trap 2
	ds_read_b64 v[12:13], v0
	s_waitcnt lgkmcnt(0)
	buffer_gl0_inv
	s_andn2_b32 s26, s26, exec_lo
	v_cmp_ge_u64_e32 vcc_lo, v[12:13], v[70:71]
	s_orn2_b32 s78, vcc_lo, exec_lo
	s_branch .LBB6_1086
.LBB6_1091:                             ;   in Loop: Header=BB6_1055 Depth=2
	s_inst_prefetch 0x2
	s_or_b32 exec_lo, exec_lo, s24
	s_and_saveexec_b32 s24, s25
	s_xor_b32 s24, exec_lo, s24
	s_cbranch_execz .LBB6_1093
; %bb.1092:                             ;   in Loop: Header=BB6_1055 Depth=2
	ds_write_b32 v0, v92
	s_trap 2
.LBB6_1093:                             ;   in Loop: Header=BB6_1055 Depth=2
	s_or_b32 exec_lo, exec_lo, s23
	;;#ASMSTART
	s_wakeup
	;;#ASMEND
.LBB6_1094:                             ;   in Loop: Header=BB6_1055 Depth=2
	s_or_b32 exec_lo, exec_lo, s22
.LBB6_1095:                             ;   in Loop: Header=BB6_1055 Depth=2
	s_andn2_saveexec_b32 s17, s17
	s_cbranch_execz .LBB6_1097
; %bb.1096:                             ;   in Loop: Header=BB6_1055 Depth=2
	s_waitcnt vmcnt(0) lgkmcnt(0)
	s_waitcnt_vscnt null, 0x0
	buffer_gl1_inv
	buffer_gl0_inv
	s_barrier
.LBB6_1097:                             ;   in Loop: Header=BB6_1055 Depth=2
	s_or_b32 exec_lo, exec_lo, s17
.LBB6_1098:                             ;   in Loop: Header=BB6_1055 Depth=2
	s_or_b32 exec_lo, exec_lo, s16
	s_trap 2
	ds_read_b32 v9, v0
	v_and_b32_e32 v2, 0x4000, v78
	s_xor_b32 s16, s5, -1
	v_cmp_ne_u32_e32 vcc_lo, 0, v2
	s_and_b32 s17, s16, vcc_lo
	s_and_saveexec_b32 s16, s17
	s_cbranch_execz .LBB6_1117
; %bb.1099:                             ;   in Loop: Header=BB6_1055 Depth=2
	s_and_saveexec_b32 s17, s46
	s_xor_b32 s17, exec_lo, s17
	s_cbranch_execz .LBB6_1114
; %bb.1100:                             ;   in Loop: Header=BB6_1055 Depth=2
	s_and_saveexec_b32 s22, s11
	s_cbranch_execz .LBB6_1113
; %bb.1101:                             ;   in Loop: Header=BB6_1055 Depth=2
	s_mov_b32 s24, exec_lo
	s_mov_b32 s23, exec_lo
	v_mbcnt_lo_u32_b32 v2, s24, 0
	s_waitcnt vmcnt(0) lgkmcnt(0)
	s_waitcnt_vscnt null, 0x0
	buffer_gl1_inv
	buffer_gl0_inv
	v_cmpx_eq_u32_e32 0, v2
	s_cbranch_execz .LBB6_1103
; %bb.1102:                             ;   in Loop: Header=BB6_1055 Depth=2
	s_bcnt1_i32_b32 s24, s24
	v_mov_b32_e32 v2, s24
	ds_add_u64 v0, v[2:3]
	s_trap 2
.LBB6_1103:                             ;   in Loop: Header=BB6_1055 Depth=2
	s_or_b32 exec_lo, exec_lo, s23
	s_trap 2
	ds_read_b64 v[12:13], v0
	s_waitcnt lgkmcnt(0)
	buffer_gl0_inv
	v_add_co_u32 v70, vcc_lo, v70, v89
	v_add_co_ci_u32_e64 v71, null, 0, v71, vcc_lo
	s_mov_b32 s23, exec_lo
	v_cmpx_lt_u64_e64 v[12:13], v[70:71]
	s_cbranch_execz .LBB6_1112
; %bb.1104:                             ;   in Loop: Header=BB6_1055 Depth=2
	s_mov_b32 s24, 0
	s_mov_b32 s28, 0
                                        ; implicit-def: $sgpr25
                                        ; implicit-def: $sgpr26
	s_inst_prefetch 0x1
	s_branch .LBB6_1106
	.p2align	6
.LBB6_1105:                             ;   in Loop: Header=BB6_1106 Depth=3
	s_or_b32 exec_lo, exec_lo, s77
	s_and_b32 s41, exec_lo, s78
	s_or_b32 s24, s41, s24
	s_andn2_b32 s25, s25, exec_lo
	s_and_b32 s41, s26, exec_lo
	s_or_b32 s25, s25, s41
	s_andn2_b32 exec_lo, exec_lo, s24
	s_cbranch_execz .LBB6_1110
.LBB6_1106:                             ;   Parent Loop BB6_47 Depth=1
                                        ;     Parent Loop BB6_1055 Depth=2
                                        ; =>    This Inner Loop Header: Depth=3
	s_add_i32 s28, s28, 1
	s_cmpk_lg_i32 s28, 0x2710
	s_cselect_b32 s41, -1, 0
	s_and_b32 vcc_lo, exec_lo, s41
	s_cbranch_vccz .LBB6_1108
; %bb.1107:                             ;   in Loop: Header=BB6_1106 Depth=3
	s_mov_b32 s78, -1
	s_or_b32 s26, s26, exec_lo
	s_and_saveexec_b32 s77, s41
	s_cbranch_execz .LBB6_1105
	s_branch .LBB6_1109
	.p2align	6
.LBB6_1108:                             ;   in Loop: Header=BB6_1106 Depth=3
	s_trap 2
	ds_read_b64 v[12:13], v0
	s_andn2_b32 s41, s41, exec_lo
	s_mov_b32 s28, 0
	s_waitcnt lgkmcnt(0)
	flat_load_dword v2, v[12:13] glc dlc
	s_waitcnt vmcnt(0) lgkmcnt(0)
	buffer_gl1_inv
	buffer_gl0_inv
	v_cmp_eq_u32_e32 vcc_lo, 0, v2
	s_and_b32 s77, vcc_lo, exec_lo
	s_or_b32 s41, s41, s77
	s_mov_b32 s78, -1
	s_or_b32 s26, s26, exec_lo
	s_and_saveexec_b32 s77, s41
	s_cbranch_execz .LBB6_1105
.LBB6_1109:                             ;   in Loop: Header=BB6_1106 Depth=3
	s_sleep 1
	s_trap 2
	ds_read_b64 v[12:13], v0
	s_waitcnt lgkmcnt(0)
	buffer_gl0_inv
	s_andn2_b32 s26, s26, exec_lo
	v_cmp_ge_u64_e32 vcc_lo, v[12:13], v[70:71]
	s_orn2_b32 s78, vcc_lo, exec_lo
	s_branch .LBB6_1105
.LBB6_1110:                             ;   in Loop: Header=BB6_1055 Depth=2
	s_inst_prefetch 0x2
	s_or_b32 exec_lo, exec_lo, s24
	s_and_saveexec_b32 s24, s25
	s_xor_b32 s24, exec_lo, s24
	s_cbranch_execz .LBB6_1112
; %bb.1111:                             ;   in Loop: Header=BB6_1055 Depth=2
	ds_write_b32 v0, v92
	s_trap 2
.LBB6_1112:                             ;   in Loop: Header=BB6_1055 Depth=2
	s_or_b32 exec_lo, exec_lo, s23
	;;#ASMSTART
	s_wakeup
	;;#ASMEND
.LBB6_1113:                             ;   in Loop: Header=BB6_1055 Depth=2
	s_or_b32 exec_lo, exec_lo, s22
.LBB6_1114:                             ;   in Loop: Header=BB6_1055 Depth=2
	s_andn2_saveexec_b32 s17, s17
	s_cbranch_execz .LBB6_1116
; %bb.1115:                             ;   in Loop: Header=BB6_1055 Depth=2
	s_waitcnt vmcnt(0) lgkmcnt(0)
	s_waitcnt_vscnt null, 0x0
	buffer_gl1_inv
	buffer_gl0_inv
	s_barrier
.LBB6_1116:                             ;   in Loop: Header=BB6_1055 Depth=2
	s_or_b32 exec_lo, exec_lo, s17
.LBB6_1117:                             ;   in Loop: Header=BB6_1055 Depth=2
	s_or_b32 exec_lo, exec_lo, s16
	s_trap 2
	ds_read_b64 v[12:13], v0
	v_sub_nc_u32_e32 v2, v20, v8
	v_min_i32_e32 v21, v21, v2
	s_waitcnt lgkmcnt(0)
	v_cmp_eq_u64_e32 vcc_lo, 0, v[12:13]
	s_cbranch_vccnz .LBB6_1125
; %bb.1118:                             ;   in Loop: Header=BB6_1055 Depth=2
	s_trap 2
	ds_read_b64 v[14:15], v0
	s_waitcnt lgkmcnt(0)
	v_cmp_eq_u64_e32 vcc_lo, 0, v[14:15]
	s_cbranch_vccnz .LBB6_1125
; %bb.1119:                             ;   in Loop: Header=BB6_1055 Depth=2
	s_mov_b32 s16, -1
	s_and_saveexec_b32 s17, s13
	s_cbranch_execz .LBB6_1121
; %bb.1120:                             ;   in Loop: Header=BB6_1055 Depth=2
	ds_read_b32 v2, v0 offset:720
	s_waitcnt lgkmcnt(0)
	v_and_b32_e32 v2, 15, v2
	v_cmp_eq_u32_e32 vcc_lo, 0, v2
	s_orn2_b32 s16, vcc_lo, exec_lo
.LBB6_1121:                             ;   in Loop: Header=BB6_1055 Depth=2
	s_or_b32 exec_lo, exec_lo, s17
	s_and_saveexec_b32 s17, s12
	s_cbranch_execz .LBB6_1123
; %bb.1122:                             ;   in Loop: Header=BB6_1055 Depth=2
	ds_read_b32 v2, v0 offset:784
	s_waitcnt lgkmcnt(0)
	v_and_b32_e32 v2, 15, v2
	v_cmp_eq_u32_e32 vcc_lo, 0, v2
	s_and_b32 s22, s16, vcc_lo
	s_andn2_b32 s16, s16, exec_lo
	s_and_b32 s22, s22, exec_lo
	s_or_b32 s16, s16, s22
.LBB6_1123:                             ;   in Loop: Header=BB6_1055 Depth=2
	s_or_b32 exec_lo, exec_lo, s17
	v_cmp_eq_u32_e32 vcc_lo, 0, v9
	s_xor_b32 s16, s16, -1
	v_mov_b32_e32 v22, 0
	v_cndmask_b32_e64 v16, 0, 1, s16
	s_mov_b32 s16, -1
	v_cndmask_b32_e32 v2, 0, v21, vcc_lo
	v_cmp_ne_u32_e32 vcc_lo, 0, v16
	v_lshlrev_b32_e32 v9, 3, v2
	s_cbranch_vccz .LBB6_1130
; %bb.1124:                             ;   in Loop: Header=BB6_1055 Depth=2
	v_mov_b32_e32 v23, v0
	s_and_saveexec_b32 s17, s16
	s_cbranch_execnz .LBB6_1141
	s_branch .LBB6_1149
.LBB6_1125:                             ;   in Loop: Header=BB6_1055 Depth=2
	s_mov_b32 s16, 0
	s_and_saveexec_b32 s17, s6
	s_cbranch_execnz .LBB6_1150
.LBB6_1126:                             ;   in Loop: Header=BB6_1055 Depth=2
	s_or_b32 exec_lo, exec_lo, s17
	s_and_saveexec_b32 s17, s15
	s_xor_b32 s17, exec_lo, s17
	s_cbranch_execz .LBB6_1168
.LBB6_1127:                             ;   in Loop: Header=BB6_1055 Depth=2
	v_and_b32_e32 v2, 16, v78
	v_cmp_ne_u32_e32 vcc_lo, 0, v2
	s_and_b32 s22, vcc_lo, s16
	s_and_saveexec_b32 s16, s22
	s_cbranch_execz .LBB6_1129
; %bb.1128:                             ;   in Loop: Header=BB6_1055 Depth=2
	s_waitcnt vmcnt(0) lgkmcnt(0)
	s_waitcnt_vscnt null, 0x0
	buffer_gl1_inv
	buffer_gl0_inv
.LBB6_1129:                             ;   in Loop: Header=BB6_1055 Depth=2
	s_or_b32 exec_lo, exec_lo, s16
	s_andn2_saveexec_b32 s16, s17
	s_cbranch_execz .LBB6_1187
	s_branch .LBB6_1169
.LBB6_1130:                             ;   in Loop: Header=BB6_1055 Depth=2
	v_ashrrev_i32_e32 v16, 31, v9
	s_mov_b32 s17, exec_lo
	v_lshrrev_b32_e32 v16, 20, v16
	v_add_nc_u32_e32 v16, v9, v16
	v_ashrrev_i32_e32 v22, 12, v16
	v_sub_nc_u32_e32 v24, v22, v91
	v_cmpx_lt_i32_e32 0, v24
	s_cbranch_execz .LBB6_1134
; %bb.1131:                             ;   in Loop: Header=BB6_1055 Depth=2
	v_mov_b32_e32 v17, v15
	v_mov_b32_e32 v19, v13
	;; [unrolled: 1-line block ×4, first 2 shown]
	s_mov_b32 s22, 0
.LBB6_1132:                             ;   Parent Loop BB6_47 Depth=1
                                        ;     Parent Loop BB6_1055 Depth=2
                                        ; =>    This Inner Loop Header: Depth=3
	v_add_co_u32 v25, vcc_lo, v111, v18
	v_add_co_ci_u32_e64 v26, null, 0, v19, vcc_lo
	v_sub_nc_u32_e32 v24, v24, v89
	v_add_co_u32 v52, vcc_lo, 0x800, v25
	v_add_co_ci_u32_e64 v53, null, 0, v26, vcc_lo
	s_clause 0x3
	global_load_dwordx4 v[32:35], v[25:26], off slc
	global_load_dwordx4 v[36:39], v[25:26], off offset:512 slc
	global_load_dwordx4 v[48:51], v[25:26], off offset:1024 slc
	;; [unrolled: 1-line block ×3, first 2 shown]
	s_clause 0x3
	global_load_dwordx4 v[112:115], v[52:53], off slc
	global_load_dwordx4 v[116:119], v[52:53], off offset:512 slc
	global_load_dwordx4 v[40:43], v[52:53], off offset:1024 slc
	;; [unrolled: 1-line block ×3, first 2 shown]
	v_add_co_u32 v25, vcc_lo, v111, v16
	v_add_co_ci_u32_e64 v26, null, 0, v17, vcc_lo
	v_add_co_u32 v18, vcc_lo, v18, v95
	v_add_co_ci_u32_e64 v19, null, 0, v19, vcc_lo
	;; [unrolled: 2-line block ×3, first 2 shown]
	v_cmp_gt_i32_e32 vcc_lo, 1, v24
	v_add_co_u32 v52, s16, 0x800, v25
	v_add_co_ci_u32_e64 v53, null, 0, v26, s16
	s_or_b32 s22, vcc_lo, s22
	s_waitcnt vmcnt(7)
	global_store_dwordx4 v[25:26], v[32:35], off glc slc
	s_waitcnt vmcnt(6)
	global_store_dwordx4 v[25:26], v[36:39], off offset:512 glc slc
	s_waitcnt vmcnt(5)
	global_store_dwordx4 v[25:26], v[48:51], off offset:1024 glc slc
	;; [unrolled: 2-line block ×3, first 2 shown]
	s_waitcnt vmcnt(3)
	global_store_dwordx4 v[52:53], v[112:115], off glc slc
	s_waitcnt vmcnt(2)
	global_store_dwordx4 v[52:53], v[116:119], off offset:512 glc slc
	s_waitcnt vmcnt(1)
	global_store_dwordx4 v[52:53], v[40:43], off offset:1024 glc slc
	;; [unrolled: 2-line block ×3, first 2 shown]
	s_andn2_b32 exec_lo, exec_lo, s22
	s_cbranch_execnz .LBB6_1132
; %bb.1133:                             ;   in Loop: Header=BB6_1055 Depth=2
	s_or_b32 exec_lo, exec_lo, s22
.LBB6_1134:                             ;   in Loop: Header=BB6_1055 Depth=2
	s_or_b32 exec_lo, exec_lo, s17
	v_lshlrev_b32_e32 v16, 12, v22
	v_mov_b32_e32 v22, 0
	s_mov_b32 s16, 0
	s_mov_b32 s22, exec_lo
                                        ; implicit-def: $vgpr23
	v_cmpx_ne_u32_e64 v9, v16
	s_cbranch_execz .LBB6_1140
; %bb.1135:                             ;   in Loop: Header=BB6_1055 Depth=2
	v_lshlrev_b32_e32 v17, 5, v24
	v_sub_nc_u32_e32 v22, v9, v16
	s_mov_b32 s23, exec_lo
	v_sub_nc_u32_e32 v17, v90, v17
	v_ashrrev_i32_e32 v19, 31, v22
	v_ashrrev_i32_e32 v18, 31, v17
	v_lshrrev_b32_e32 v18, 27, v18
	v_add_nc_u32_e32 v23, v17, v18
	v_lshrrev_b32_e32 v18, 23, v19
	v_and_b32_e32 v19, 0xffffffe0, v23
	v_add_nc_u32_e32 v24, v22, v18
	v_ashrrev_i32_e32 v25, 5, v23
	v_sub_nc_u32_e32 v17, v17, v19
	v_and_b32_e32 v18, 0xfffffe00, v24
	v_ashrrev_i32_e32 v26, 9, v24
	v_lshlrev_b32_e32 v23, 4, v17
	v_sub_nc_u32_e32 v19, v22, v18
	v_lshl_add_u32 v24, v25, 9, v23
	v_cmp_lt_i32_e32 vcc_lo, 15, v19
	v_sub_nc_u32_e32 v23, v22, v24
	v_add_co_ci_u32_e64 v26, null, 0, v26, vcc_lo
	v_sub_nc_u32_e32 v22, v26, v25
	v_cmpx_lt_i32_e32 15, v23
	s_cbranch_execz .LBB6_1139
; %bb.1136:                             ;   in Loop: Header=BB6_1055 Depth=2
	v_add_nc_u32_e32 v24, v24, v16
	s_mov_b32 s24, 0
	v_ashrrev_i32_e32 v25, 31, v24
	.p2align	6
.LBB6_1137:                             ;   Parent Loop BB6_47 Depth=1
                                        ;     Parent Loop BB6_1055 Depth=2
                                        ; =>    This Inner Loop Header: Depth=3
	v_add_co_u32 v26, s16, v12, v24
	v_add_co_ci_u32_e64 v27, null, v13, v25, s16
	v_sub_nc_u32_e32 v23, v23, v104
	v_sub_nc_u32_e32 v22, v22, v89
	global_load_dwordx4 v[32:35], v[26:27], off slc
	v_add_co_u32 v26, s16, v14, v24
	v_add_co_ci_u32_e64 v27, null, v15, v25, s16
	v_cmp_gt_i32_e64 s16, 16, v23
	v_add_co_u32 v24, s17, v24, v104
	v_add_co_ci_u32_e64 v25, null, 0, v25, s17
	s_or_b32 s24, s16, s24
	s_waitcnt vmcnt(0)
	global_store_dwordx4 v[26:27], v[32:35], off glc slc
	s_andn2_b32 exec_lo, exec_lo, s24
	s_cbranch_execnz .LBB6_1137
; %bb.1138:                             ;   in Loop: Header=BB6_1055 Depth=2
	s_or_b32 exec_lo, exec_lo, s24
.LBB6_1139:                             ;   in Loop: Header=BB6_1055 Depth=2
	s_or_b32 exec_lo, exec_lo, s23
	v_and_b32_e32 v9, 8, v9
	v_cmp_lt_i32_e64 s16, 0, v22
	v_sub_nc_u32_e32 v23, v19, v9
	v_cndmask_b32_e64 v24, 0, v89, s16
	v_cndmask_b32_e32 v9, v19, v9, vcc_lo
	v_cndmask_b32_e32 v19, 0, v23, vcc_lo
	v_sub_nc_u32_e32 v23, v24, v22
	v_cmp_ne_u32_e32 vcc_lo, 0, v9
	v_add3_u32 v22, v18, v16, v19
	v_lshl_add_u32 v23, v23, 5, v17
	s_and_b32 s16, vcc_lo, exec_lo
.LBB6_1140:                             ;   in Loop: Header=BB6_1055 Depth=2
	s_or_b32 exec_lo, exec_lo, s22
	s_and_saveexec_b32 s17, s16
	s_cbranch_execz .LBB6_1149
.LBB6_1141:                             ;   in Loop: Header=BB6_1055 Depth=2
	v_ashrrev_i32_e32 v16, 31, v23
	v_ashrrev_i32_e32 v17, 31, v9
	s_mov_b32 s22, exec_lo
	v_lshrrev_b32_e32 v16, 27, v16
	v_lshrrev_b32_e32 v17, 22, v17
	v_add_nc_u32_e32 v16, v23, v16
	v_add_nc_u32_e32 v17, v9, v17
	v_ashrrev_i32_e32 v24, 5, v16
	v_ashrrev_i32_e32 v26, 10, v17
	v_sub_nc_u32_e32 v25, v26, v24
	v_cmpx_lt_i32_e32 0, v25
	s_cbranch_execz .LBB6_1145
; %bb.1142:                             ;   in Loop: Header=BB6_1055 Depth=2
	v_and_b32_e32 v16, 0x1fffffe0, v16
	v_lshlrev_b32_e32 v17, 10, v24
	v_mov_b32_e32 v19, v13
	v_mov_b32_e32 v18, v12
	s_mov_b32 s23, 0
	v_sub_nc_u32_e32 v16, v23, v16
	v_lshlrev_b32_e32 v16, 3, v16
	v_add3_u32 v27, v16, v22, v17
	v_mov_b32_e32 v17, v15
	v_mov_b32_e32 v16, v14
	v_ashrrev_i32_e32 v32, 31, v27
	s_inst_prefetch 0x1
	.p2align	6
.LBB6_1143:                             ;   Parent Loop BB6_47 Depth=1
                                        ;     Parent Loop BB6_1055 Depth=2
                                        ; =>    This Inner Loop Header: Depth=3
	v_add_co_u32 v33, vcc_lo, v27, v18
	v_add_co_ci_u32_e64 v34, null, v32, v19, vcc_lo
	v_sub_nc_u32_e32 v25, v25, v89
	v_add_co_u32 v50, vcc_lo, v27, v16
	s_clause 0x3
	flat_load_dwordx2 v[35:36], v[33:34] slc
	flat_load_dwordx2 v[37:38], v[33:34] offset:256 slc
	flat_load_dwordx2 v[48:49], v[33:34] offset:512 slc
	;; [unrolled: 1-line block ×3, first 2 shown]
	v_add_co_ci_u32_e64 v51, null, v32, v17, vcc_lo
	v_add_co_u32 v18, vcc_lo, v18, v105
	v_add_co_ci_u32_e64 v19, null, 0, v19, vcc_lo
	v_add_co_u32 v16, vcc_lo, v16, v105
	v_cmp_gt_i32_e64 s16, 1, v25
	v_add_co_ci_u32_e64 v17, null, 0, v17, vcc_lo
	s_waitcnt vmcnt(3) lgkmcnt(3)
	flat_store_dwordx2 v[50:51], v[35:36] glc slc
	s_waitcnt vmcnt(2) lgkmcnt(3)
	flat_store_dwordx2 v[50:51], v[37:38] offset:256 glc slc
	s_waitcnt vmcnt(1) lgkmcnt(3)
	flat_store_dwordx2 v[50:51], v[48:49] offset:512 glc slc
	;; [unrolled: 2-line block ×3, first 2 shown]
	s_or_b32 s23, s16, s23
	s_andn2_b32 exec_lo, exec_lo, s23
	s_cbranch_execnz .LBB6_1143
; %bb.1144:                             ;   in Loop: Header=BB6_1055 Depth=2
	s_inst_prefetch 0x2
	s_or_b32 exec_lo, exec_lo, s23
.LBB6_1145:                             ;   in Loop: Header=BB6_1055 Depth=2
	s_or_b32 exec_lo, exec_lo, s22
	v_lshlrev_b32_e32 v16, 10, v26
	v_cmp_ne_u32_e32 vcc_lo, v9, v16
	s_and_b32 exec_lo, exec_lo, vcc_lo
	s_cbranch_execz .LBB6_1149
; %bb.1146:                             ;   in Loop: Header=BB6_1055 Depth=2
	v_lshlrev_b32_e32 v17, 5, v24
	v_lshlrev_b32_e32 v18, 5, v25
	v_sub_nc_u32_e32 v17, v23, v17
	v_sub_nc_u32_e32 v17, v17, v18
	v_ashrrev_i32_e32 v18, 31, v17
	v_lshrrev_b32_e32 v18, 27, v18
	v_add_nc_u32_e32 v18, v17, v18
	v_and_b32_e32 v19, 0x1fffffe0, v18
	v_lshlrev_b32_e32 v18, 3, v18
	v_sub_nc_u32_e32 v17, v17, v19
	v_and_b32_e32 v18, 0xffffff00, v18
	v_lshlrev_b32_e32 v17, 3, v17
	v_add3_u32 v16, v18, v17, v16
	v_sub_nc_u32_e32 v9, v9, v16
	v_cmp_lt_i32_e32 vcc_lo, 7, v9
	s_and_b32 exec_lo, exec_lo, vcc_lo
	s_cbranch_execz .LBB6_1149
; %bb.1147:                             ;   in Loop: Header=BB6_1055 Depth=2
	v_add_nc_u32_e32 v16, v16, v22
	s_mov_b32 s22, 0
	v_ashrrev_i32_e32 v17, 31, v16
	.p2align	6
.LBB6_1148:                             ;   Parent Loop BB6_47 Depth=1
                                        ;     Parent Loop BB6_1055 Depth=2
                                        ; =>    This Inner Loop Header: Depth=3
	v_add_co_u32 v18, vcc_lo, v12, v16
	v_add_co_ci_u32_e64 v19, null, v13, v17, vcc_lo
	v_sub_nc_u32_e32 v9, v9, v106
	v_add_co_u32 v22, vcc_lo, v14, v16
	flat_load_dwordx2 v[18:19], v[18:19] slc
	v_add_co_ci_u32_e64 v23, null, v15, v17, vcc_lo
	v_cmp_gt_i32_e32 vcc_lo, 8, v9
	v_add_co_u32 v16, s16, v16, v106
	v_add_co_ci_u32_e64 v17, null, 0, v17, s16
	s_or_b32 s22, vcc_lo, s22
	s_waitcnt vmcnt(0) lgkmcnt(0)
	flat_store_dwordx2 v[22:23], v[18:19] glc slc
	s_andn2_b32 exec_lo, exec_lo, s22
	s_cbranch_execnz .LBB6_1148
.LBB6_1149:                             ;   in Loop: Header=BB6_1055 Depth=2
	s_or_b32 exec_lo, exec_lo, s17
	v_cmp_lt_i32_e64 s16, 0, v2
	s_and_saveexec_b32 s17, s6
	s_cbranch_execz .LBB6_1126
.LBB6_1150:                             ;   in Loop: Header=BB6_1055 Depth=2
	s_and_saveexec_b32 s22, s46
	s_xor_b32 s22, exec_lo, s22
	s_cbranch_execz .LBB6_1165
; %bb.1151:                             ;   in Loop: Header=BB6_1055 Depth=2
	s_and_saveexec_b32 s23, s11
	s_cbranch_execz .LBB6_1164
; %bb.1152:                             ;   in Loop: Header=BB6_1055 Depth=2
	s_mov_b32 s25, exec_lo
	s_mov_b32 s24, exec_lo
	v_mbcnt_lo_u32_b32 v2, s25, 0
	s_waitcnt vmcnt(0) lgkmcnt(0)
	s_waitcnt_vscnt null, 0x0
	buffer_gl1_inv
	buffer_gl0_inv
	v_cmpx_eq_u32_e32 0, v2
	s_cbranch_execz .LBB6_1154
; %bb.1153:                             ;   in Loop: Header=BB6_1055 Depth=2
	s_bcnt1_i32_b32 s25, s25
	v_mov_b32_e32 v2, s25
	ds_add_u64 v0, v[2:3]
	s_trap 2
.LBB6_1154:                             ;   in Loop: Header=BB6_1055 Depth=2
	s_or_b32 exec_lo, exec_lo, s24
	s_trap 2
	ds_read_b64 v[12:13], v0
	s_waitcnt lgkmcnt(0)
	buffer_gl0_inv
	v_add_co_u32 v70, vcc_lo, v70, v89
	v_add_co_ci_u32_e64 v71, null, 0, v71, vcc_lo
	s_mov_b32 s24, exec_lo
	v_cmpx_lt_u64_e64 v[12:13], v[70:71]
	s_cbranch_execz .LBB6_1163
; %bb.1155:                             ;   in Loop: Header=BB6_1055 Depth=2
	s_mov_b32 s25, 0
	s_mov_b32 s41, 0
                                        ; implicit-def: $sgpr26
                                        ; implicit-def: $sgpr28
	s_inst_prefetch 0x1
	s_branch .LBB6_1157
	.p2align	6
.LBB6_1156:                             ;   in Loop: Header=BB6_1157 Depth=3
	s_or_b32 exec_lo, exec_lo, s78
	s_and_b32 s77, exec_lo, s79
	s_or_b32 s25, s77, s25
	s_andn2_b32 s26, s26, exec_lo
	s_and_b32 s77, s28, exec_lo
	s_or_b32 s26, s26, s77
	s_andn2_b32 exec_lo, exec_lo, s25
	s_cbranch_execz .LBB6_1161
.LBB6_1157:                             ;   Parent Loop BB6_47 Depth=1
                                        ;     Parent Loop BB6_1055 Depth=2
                                        ; =>    This Inner Loop Header: Depth=3
	s_add_i32 s41, s41, 1
	s_cmpk_lg_i32 s41, 0x2710
	s_cselect_b32 s77, -1, 0
	s_and_b32 vcc_lo, exec_lo, s77
	s_cbranch_vccz .LBB6_1159
; %bb.1158:                             ;   in Loop: Header=BB6_1157 Depth=3
	s_mov_b32 s79, -1
	s_or_b32 s28, s28, exec_lo
	s_and_saveexec_b32 s78, s77
	s_cbranch_execz .LBB6_1156
	s_branch .LBB6_1160
	.p2align	6
.LBB6_1159:                             ;   in Loop: Header=BB6_1157 Depth=3
	s_trap 2
	ds_read_b64 v[12:13], v0
	s_andn2_b32 s77, s77, exec_lo
	s_mov_b32 s41, 0
	s_waitcnt lgkmcnt(0)
	flat_load_dword v2, v[12:13] glc dlc
	s_waitcnt vmcnt(0) lgkmcnt(0)
	buffer_gl1_inv
	buffer_gl0_inv
	v_cmp_eq_u32_e32 vcc_lo, 0, v2
	s_and_b32 s78, vcc_lo, exec_lo
	s_or_b32 s77, s77, s78
	s_mov_b32 s79, -1
	s_or_b32 s28, s28, exec_lo
	s_and_saveexec_b32 s78, s77
	s_cbranch_execz .LBB6_1156
.LBB6_1160:                             ;   in Loop: Header=BB6_1157 Depth=3
	s_sleep 1
	s_trap 2
	ds_read_b64 v[12:13], v0
	s_waitcnt lgkmcnt(0)
	buffer_gl0_inv
	s_andn2_b32 s28, s28, exec_lo
	v_cmp_ge_u64_e32 vcc_lo, v[12:13], v[70:71]
	s_orn2_b32 s79, vcc_lo, exec_lo
	s_branch .LBB6_1156
.LBB6_1161:                             ;   in Loop: Header=BB6_1055 Depth=2
	s_inst_prefetch 0x2
	s_or_b32 exec_lo, exec_lo, s25
	s_and_saveexec_b32 s25, s26
	s_xor_b32 s25, exec_lo, s25
	s_cbranch_execz .LBB6_1163
; %bb.1162:                             ;   in Loop: Header=BB6_1055 Depth=2
	ds_write_b32 v0, v92
	s_trap 2
.LBB6_1163:                             ;   in Loop: Header=BB6_1055 Depth=2
	s_or_b32 exec_lo, exec_lo, s24
	;;#ASMSTART
	s_wakeup
	;;#ASMEND
.LBB6_1164:                             ;   in Loop: Header=BB6_1055 Depth=2
	s_or_b32 exec_lo, exec_lo, s23
.LBB6_1165:                             ;   in Loop: Header=BB6_1055 Depth=2
	s_andn2_saveexec_b32 s22, s22
	s_cbranch_execz .LBB6_1167
; %bb.1166:                             ;   in Loop: Header=BB6_1055 Depth=2
	s_waitcnt vmcnt(0) lgkmcnt(0)
	s_waitcnt_vscnt null, 0x0
	buffer_gl1_inv
	buffer_gl0_inv
	s_barrier
.LBB6_1167:                             ;   in Loop: Header=BB6_1055 Depth=2
	s_or_b32 exec_lo, exec_lo, s22
	s_or_b32 exec_lo, exec_lo, s17
	s_and_saveexec_b32 s17, s15
	s_xor_b32 s17, exec_lo, s17
	s_cbranch_execnz .LBB6_1127
.LBB6_1168:                             ;   in Loop: Header=BB6_1055 Depth=2
	s_andn2_saveexec_b32 s16, s17
	s_cbranch_execz .LBB6_1187
.LBB6_1169:                             ;   in Loop: Header=BB6_1055 Depth=2
	s_and_saveexec_b32 s17, s46
	s_xor_b32 s17, exec_lo, s17
	s_cbranch_execz .LBB6_1184
; %bb.1170:                             ;   in Loop: Header=BB6_1055 Depth=2
	s_and_saveexec_b32 s22, s11
	s_cbranch_execz .LBB6_1183
; %bb.1171:                             ;   in Loop: Header=BB6_1055 Depth=2
	s_mov_b32 s24, exec_lo
	s_mov_b32 s23, exec_lo
	v_mbcnt_lo_u32_b32 v2, s24, 0
	;;#ASMSTART
	s_waitcnt lgkmcnt(0) vmcnt(0)
	;;#ASMEND
	v_cmpx_eq_u32_e32 0, v2
	s_cbranch_execz .LBB6_1173
; %bb.1172:                             ;   in Loop: Header=BB6_1055 Depth=2
	s_bcnt1_i32_b32 s24, s24
	v_mov_b32_e32 v2, s24
	s_waitcnt vmcnt(0) lgkmcnt(0)
	s_waitcnt_vscnt null, 0x0
	ds_add_u64 v0, v[2:3]
	s_trap 2
.LBB6_1173:                             ;   in Loop: Header=BB6_1055 Depth=2
	s_or_b32 exec_lo, exec_lo, s23
	s_trap 2
	ds_read_b64 v[12:13], v0
	s_waitcnt vmcnt(0) lgkmcnt(0)
	buffer_gl0_inv
	v_add_co_u32 v70, vcc_lo, v70, v89
	v_add_co_ci_u32_e64 v71, null, 0, v71, vcc_lo
	s_mov_b32 s23, exec_lo
	v_cmpx_lt_u64_e64 v[12:13], v[70:71]
	s_cbranch_execz .LBB6_1182
; %bb.1174:                             ;   in Loop: Header=BB6_1055 Depth=2
	s_mov_b32 s24, 0
	s_mov_b32 s28, 0
                                        ; implicit-def: $sgpr25
                                        ; implicit-def: $sgpr26
	s_inst_prefetch 0x1
	s_branch .LBB6_1176
	.p2align	6
.LBB6_1175:                             ;   in Loop: Header=BB6_1176 Depth=3
	s_or_b32 exec_lo, exec_lo, s77
	s_and_b32 s41, exec_lo, s78
	s_or_b32 s24, s41, s24
	s_andn2_b32 s25, s25, exec_lo
	s_and_b32 s41, s26, exec_lo
	s_or_b32 s25, s25, s41
	s_andn2_b32 exec_lo, exec_lo, s24
	s_cbranch_execz .LBB6_1180
.LBB6_1176:                             ;   Parent Loop BB6_47 Depth=1
                                        ;     Parent Loop BB6_1055 Depth=2
                                        ; =>    This Inner Loop Header: Depth=3
	s_add_i32 s28, s28, 1
	s_cmpk_lg_i32 s28, 0x2710
	s_cselect_b32 s41, -1, 0
	s_and_b32 vcc_lo, exec_lo, s41
	s_cbranch_vccz .LBB6_1178
; %bb.1177:                             ;   in Loop: Header=BB6_1176 Depth=3
	s_mov_b32 s78, -1
	s_or_b32 s26, s26, exec_lo
	s_and_saveexec_b32 s77, s41
	s_cbranch_execz .LBB6_1175
	s_branch .LBB6_1179
	.p2align	6
.LBB6_1178:                             ;   in Loop: Header=BB6_1176 Depth=3
	s_trap 2
	ds_read_b64 v[12:13], v0
	s_andn2_b32 s41, s41, exec_lo
	s_mov_b32 s28, 0
	s_waitcnt lgkmcnt(0)
	s_waitcnt_vscnt null, 0x0
	flat_load_dword v2, v[12:13] glc dlc
	s_waitcnt vmcnt(0) lgkmcnt(0)
	buffer_gl1_inv
	buffer_gl0_inv
	v_cmp_eq_u32_e32 vcc_lo, 0, v2
	s_and_b32 s77, vcc_lo, exec_lo
	s_or_b32 s41, s41, s77
	s_mov_b32 s78, -1
	s_or_b32 s26, s26, exec_lo
	s_and_saveexec_b32 s77, s41
	s_cbranch_execz .LBB6_1175
.LBB6_1179:                             ;   in Loop: Header=BB6_1176 Depth=3
	s_sleep 1
	s_trap 2
	ds_read_b64 v[12:13], v0
	s_waitcnt lgkmcnt(0)
	buffer_gl0_inv
	s_andn2_b32 s26, s26, exec_lo
	v_cmp_ge_u64_e32 vcc_lo, v[12:13], v[70:71]
	s_orn2_b32 s78, vcc_lo, exec_lo
	s_branch .LBB6_1175
.LBB6_1180:                             ;   in Loop: Header=BB6_1055 Depth=2
	s_inst_prefetch 0x2
	s_or_b32 exec_lo, exec_lo, s24
	s_and_saveexec_b32 s24, s25
	s_xor_b32 s24, exec_lo, s24
	s_cbranch_execz .LBB6_1182
; %bb.1181:                             ;   in Loop: Header=BB6_1055 Depth=2
	ds_write_b32 v0, v92
	s_trap 2
.LBB6_1182:                             ;   in Loop: Header=BB6_1055 Depth=2
	s_or_b32 exec_lo, exec_lo, s23
	;;#ASMSTART
	s_wakeup
	;;#ASMEND
.LBB6_1183:                             ;   in Loop: Header=BB6_1055 Depth=2
	s_or_b32 exec_lo, exec_lo, s22
.LBB6_1184:                             ;   in Loop: Header=BB6_1055 Depth=2
	s_andn2_saveexec_b32 s17, s17
	s_cbranch_execz .LBB6_1186
; %bb.1185:                             ;   in Loop: Header=BB6_1055 Depth=2
	;;#ASMSTART
	s_waitcnt lgkmcnt(0) vmcnt(0)
	;;#ASMEND
	s_barrier
.LBB6_1186:                             ;   in Loop: Header=BB6_1055 Depth=2
	s_or_b32 exec_lo, exec_lo, s17
.LBB6_1187:                             ;   in Loop: Header=BB6_1055 Depth=2
	s_or_b32 exec_lo, exec_lo, s16
	v_and_b32_e32 v2, 32, v78
	s_mov_b32 s16, exec_lo
	v_cmpx_ne_u32_e32 0, v2
	s_cbranch_execz .LBB6_1054
; %bb.1188:                             ;   in Loop: Header=BB6_1055 Depth=2
	v_add_co_u32 v96, vcc_lo, v96, 2
	v_add_co_ci_u32_e64 v97, null, 0, v97, vcc_lo
	s_waitcnt vmcnt(0) lgkmcnt(0)
	s_waitcnt_vscnt null, 0x0
	flat_store_dwordx2 v[64:65], v[96:97]
	s_branch .LBB6_1054
.LBB6_1189:                             ;   in Loop: Header=BB6_47 Depth=1
	s_or_b32 exec_lo, exec_lo, s19
.LBB6_1190:                             ;   in Loop: Header=BB6_47 Depth=1
	s_or_b32 exec_lo, exec_lo, s18
	s_mov_b32 s17, exec_lo
	v_cmpx_gt_i32_e32 2, v2
	s_cbranch_execz .LBB6_46
; %bb.1191:                             ;   in Loop: Header=BB6_47 Depth=1
	v_cmp_eq_u32_e64 s19, 0, v2
	s_mov_b32 s18, 0
	s_branch .LBB6_1193
.LBB6_1192:                             ;   in Loop: Header=BB6_1193 Depth=2
	s_or_b32 exec_lo, exec_lo, s16
	v_add_nc_u32_e32 v8, v21, v8
	s_mov_b32 s19, 0
	s_andn2_b32 exec_lo, exec_lo, s18
	s_cbranch_execz .LBB6_45
.LBB6_1193:                             ;   Parent Loop BB6_47 Depth=1
                                        ; =>  This Loop Header: Depth=2
                                        ;       Child Loop BB6_1199 Depth 3
                                        ;       Child Loop BB6_1223 Depth 3
	;; [unrolled: 1-line block ×3, first 2 shown]
	v_and_b32_e32 v2, 4, v78
	s_mov_b32 s20, exec_lo
	v_cmpx_ne_u32_e32 0, v2
	s_cbranch_execz .LBB6_1215
; %bb.1194:                             ;   in Loop: Header=BB6_1193 Depth=2
	v_add_co_u32 v9, vcc_lo, v96, 2
	v_add_co_ci_u32_e64 v10, null, 0, v97, vcc_lo
	s_mov_b32 s21, exec_lo
	s_waitcnt vmcnt(0) lgkmcnt(1)
	v_cmpx_lt_u64_e64 v[80:81], v[9:10]
	s_cbranch_execz .LBB6_1206
; %bb.1195:                             ;   in Loop: Header=BB6_1193 Depth=2
	v_and_b32_e32 v2, 64, v78
	s_mov_b32 s22, 0
	s_mov_b32 s26, 0
                                        ; implicit-def: $sgpr23
                                        ; implicit-def: $sgpr24
                                        ; implicit-def: $sgpr25
	v_cmp_eq_u32_e32 vcc_lo, 0, v2
	s_branch .LBB6_1199
.LBB6_1196:                             ;   in Loop: Header=BB6_1199 Depth=3
	s_waitcnt vmcnt(0) lgkmcnt(0)
	v_cmp_ge_u64_e64 s16, v[80:81], v[9:10]
	s_or_b32 s77, s77, exec_lo
	s_orn2_b32 s41, s16, exec_lo
.LBB6_1197:                             ;   in Loop: Header=BB6_1199 Depth=3
	s_or_b32 exec_lo, exec_lo, s79
	s_andn2_b32 s16, s25, exec_lo
	s_and_b32 s25, s77, exec_lo
	s_andn2_b32 s24, s24, exec_lo
	s_and_b32 s41, s41, exec_lo
	s_or_b32 s25, s16, s25
	s_or_b32 s24, s24, s41
.LBB6_1198:                             ;   in Loop: Header=BB6_1199 Depth=3
	s_or_b32 exec_lo, exec_lo, s28
	s_and_b32 s16, exec_lo, s24
	s_or_b32 s22, s16, s22
	s_andn2_b32 s16, s23, exec_lo
	s_and_b32 s23, s25, exec_lo
	s_or_b32 s23, s16, s23
	s_andn2_b32 exec_lo, exec_lo, s22
	s_cbranch_execz .LBB6_1203
.LBB6_1199:                             ;   Parent Loop BB6_47 Depth=1
                                        ;     Parent Loop BB6_1193 Depth=2
                                        ; =>    This Inner Loop Header: Depth=3
	s_sleep 1
	s_waitcnt vmcnt(0) lgkmcnt(0)
	flat_load_dwordx2 v[80:81], v[64:65] glc dlc
	s_or_b32 s25, s25, exec_lo
	s_or_b32 s24, s24, exec_lo
                                        ; implicit-def: $vgpr2
	s_and_saveexec_b32 s28, vcc_lo
	s_cbranch_execz .LBB6_1198
; %bb.1200:                             ;   in Loop: Header=BB6_1199 Depth=3
	s_cmpk_lt_i32 s26, 0x270f
	s_mov_b32 s41, -1
	s_cselect_b32 s78, -1, 0
	s_cmpk_gt_i32 s26, 0x270e
	s_cbranch_scc0 .LBB6_1202
; %bb.1201:                             ;   in Loop: Header=BB6_1199 Depth=3
	s_trap 2
	ds_read_b64 v[11:12], v0
	s_andn2_b32 s26, s78, exec_lo
	s_mov_b32 s77, 0
	s_waitcnt vmcnt(0) lgkmcnt(0)
	s_waitcnt_vscnt null, 0x0
	flat_load_dword v2, v[11:12] glc dlc
	s_waitcnt vmcnt(0) lgkmcnt(0)
	buffer_gl1_inv
	buffer_gl0_inv
	v_cmp_eq_u32_e64 s16, 0, v2
	s_and_b32 s16, s16, exec_lo
	s_or_b32 s78, s26, s16
	s_mov_b32 s26, 0
	s_and_saveexec_b32 s79, s78
	s_cbranch_execz .LBB6_1197
	s_branch .LBB6_1196
.LBB6_1202:                             ;   in Loop: Header=BB6_1199 Depth=3
	s_add_i32 s26, s26, 1
	s_mov_b32 s77, -1
                                        ; implicit-def: $vgpr2
	s_and_saveexec_b32 s79, s78
	s_cbranch_execz .LBB6_1197
	s_branch .LBB6_1196
.LBB6_1203:                             ;   in Loop: Header=BB6_1193 Depth=2
	s_or_b32 exec_lo, exec_lo, s22
	s_xor_b32 s16, s23, -1
	s_and_saveexec_b32 s22, s16
	s_xor_b32 s16, exec_lo, s22
	s_cbranch_execz .LBB6_1205
; %bb.1204:                             ;   in Loop: Header=BB6_1193 Depth=2
	v_or_b32_e32 v78, 64, v78
	s_waitcnt vmcnt(0) lgkmcnt(0)
	s_waitcnt_vscnt null, 0x0
	ds_write_b32 v0, v2
	s_trap 2
.LBB6_1205:                             ;   in Loop: Header=BB6_1193 Depth=2
	s_or_b32 exec_lo, exec_lo, s16
.LBB6_1206:                             ;   in Loop: Header=BB6_1193 Depth=2
	s_or_b32 exec_lo, exec_lo, s21
	v_and_b32_e32 v2, 0x100, v78
	s_mov_b32 s16, -1
	;;#ASMSTART
	s_wakeup
	;;#ASMEND
                                        ; implicit-def: $vgpr11_vgpr12
	v_cmp_ne_u32_e32 vcc_lo, 0, v2
	v_and_b32_e32 v2, 7, v96
	s_and_saveexec_b32 s21, vcc_lo
	s_cbranch_execz .LBB6_1210
; %bb.1207:                             ;   in Loop: Header=BB6_1193 Depth=2
	v_mad_u64_u32 v[13:14], null, v2, 24, v[6:7]
	flat_load_dword v11, v[13:14]
	s_waitcnt vmcnt(0) lgkmcnt(0)
	v_cmp_eq_u32_e64 s16, 1, v11
	v_cmp_ne_u32_e32 vcc_lo, 1, v11
                                        ; implicit-def: $vgpr11_vgpr12
	s_and_saveexec_b32 s22, s16
	s_cbranch_execz .LBB6_1209
; %bb.1208:                             ;   in Loop: Header=BB6_1193 Depth=2
	flat_load_dword v11, v[13:14] offset:4 glc dlc
	s_waitcnt vmcnt(0) lgkmcnt(0)
	v_ashrrev_i32_e32 v12, 31, v11
	v_lshrrev_b64 v[11:12], 3, v[11:12]
.LBB6_1209:                             ;   in Loop: Header=BB6_1193 Depth=2
	s_or_b32 exec_lo, exec_lo, s22
	s_orn2_b32 s16, vcc_lo, exec_lo
.LBB6_1210:                             ;   in Loop: Header=BB6_1193 Depth=2
	s_or_b32 exec_lo, exec_lo, s21
	s_and_saveexec_b32 s21, s16
; %bb.1211:                             ;   in Loop: Header=BB6_1193 Depth=2
	v_mad_i64_i32 v[11:12], null, v2, v79, 0
; %bb.1212:                             ;   in Loop: Header=BB6_1193 Depth=2
	s_or_b32 exec_lo, exec_lo, s21
	v_lshlrev_b64 v[11:12], 3, v[11:12]
	v_and_b32_e32 v2, 0x2000, v78
	s_mov_b32 s16, exec_lo
	v_add_co_u32 v11, vcc_lo, v66, v11
	v_add_co_ci_u32_e64 v12, null, v67, v12, vcc_lo
	ds_write_b64 v0, v[11:12] offset:720
	v_cmpx_ne_u32_e32 0, v2
	s_cbranch_execz .LBB6_1214
; %bb.1213:                             ;   in Loop: Header=BB6_1193 Depth=2
	ds_read_b64 v[11:12], v0 offset:872
	s_waitcnt lgkmcnt(0)
	v_add_co_u32 v11, vcc_lo, v11, 1
	v_add_co_ci_u32_e64 v12, null, 0, v12, vcc_lo
	ds_write_b64 v0, v[11:12] offset:872
.LBB6_1214:                             ;   in Loop: Header=BB6_1193 Depth=2
	s_or_b32 exec_lo, exec_lo, s16
	v_mov_b32_e32 v97, v10
	v_mov_b32_e32 v96, v9
.LBB6_1215:                             ;   in Loop: Header=BB6_1193 Depth=2
	s_or_b32 exec_lo, exec_lo, s20
	s_xor_b32 s16, s19, -1
	s_and_b32 s16, exec_lo, s16
	s_or_b32 s18, s16, s18
	s_and_saveexec_b32 s16, s6
	s_cbranch_execz .LBB6_1234
; %bb.1216:                             ;   in Loop: Header=BB6_1193 Depth=2
	s_and_saveexec_b32 s19, s46
	s_xor_b32 s19, exec_lo, s19
	s_cbranch_execz .LBB6_1231
; %bb.1217:                             ;   in Loop: Header=BB6_1193 Depth=2
	s_and_saveexec_b32 s20, s11
	s_cbranch_execz .LBB6_1230
; %bb.1218:                             ;   in Loop: Header=BB6_1193 Depth=2
	s_mov_b32 s22, exec_lo
	s_mov_b32 s21, exec_lo
	v_mbcnt_lo_u32_b32 v2, s22, 0
	s_waitcnt vmcnt(0) lgkmcnt(0)
	s_waitcnt_vscnt null, 0x0
	buffer_gl1_inv
	buffer_gl0_inv
	v_cmpx_eq_u32_e32 0, v2
	s_cbranch_execz .LBB6_1220
; %bb.1219:                             ;   in Loop: Header=BB6_1193 Depth=2
	s_bcnt1_i32_b32 s22, s22
	v_mov_b32_e32 v2, s22
	ds_add_u64 v0, v[2:3]
	s_trap 2
.LBB6_1220:                             ;   in Loop: Header=BB6_1193 Depth=2
	s_or_b32 exec_lo, exec_lo, s21
	s_trap 2
	ds_read_b64 v[9:10], v0
	s_waitcnt lgkmcnt(0)
	buffer_gl0_inv
	v_add_co_u32 v70, vcc_lo, v70, v89
	v_add_co_ci_u32_e64 v71, null, 0, v71, vcc_lo
	s_mov_b32 s21, exec_lo
	v_cmpx_lt_u64_e64 v[9:10], v[70:71]
	s_cbranch_execz .LBB6_1229
; %bb.1221:                             ;   in Loop: Header=BB6_1193 Depth=2
	s_mov_b32 s22, 0
	s_mov_b32 s25, 0
                                        ; implicit-def: $sgpr23
                                        ; implicit-def: $sgpr24
	s_inst_prefetch 0x1
	s_branch .LBB6_1223
	.p2align	6
.LBB6_1222:                             ;   in Loop: Header=BB6_1223 Depth=3
	s_or_b32 exec_lo, exec_lo, s28
	s_and_b32 s26, exec_lo, s41
	s_or_b32 s22, s26, s22
	s_andn2_b32 s23, s23, exec_lo
	s_and_b32 s26, s24, exec_lo
	s_or_b32 s23, s23, s26
	s_andn2_b32 exec_lo, exec_lo, s22
	s_cbranch_execz .LBB6_1227
.LBB6_1223:                             ;   Parent Loop BB6_47 Depth=1
                                        ;     Parent Loop BB6_1193 Depth=2
                                        ; =>    This Inner Loop Header: Depth=3
	s_add_i32 s25, s25, 1
	s_cmpk_lg_i32 s25, 0x2710
	s_cselect_b32 s26, -1, 0
	s_and_b32 vcc_lo, exec_lo, s26
	s_cbranch_vccz .LBB6_1225
; %bb.1224:                             ;   in Loop: Header=BB6_1223 Depth=3
	s_mov_b32 s41, -1
	s_or_b32 s24, s24, exec_lo
	s_and_saveexec_b32 s28, s26
	s_cbranch_execz .LBB6_1222
	s_branch .LBB6_1226
	.p2align	6
.LBB6_1225:                             ;   in Loop: Header=BB6_1223 Depth=3
	s_trap 2
	ds_read_b64 v[9:10], v0
	s_andn2_b32 s26, s26, exec_lo
	s_mov_b32 s25, 0
	s_waitcnt lgkmcnt(0)
	flat_load_dword v2, v[9:10] glc dlc
	s_waitcnt vmcnt(0) lgkmcnt(0)
	buffer_gl1_inv
	buffer_gl0_inv
	v_cmp_eq_u32_e32 vcc_lo, 0, v2
	s_and_b32 s28, vcc_lo, exec_lo
	s_or_b32 s26, s26, s28
	s_mov_b32 s41, -1
	s_or_b32 s24, s24, exec_lo
	s_and_saveexec_b32 s28, s26
	s_cbranch_execz .LBB6_1222
.LBB6_1226:                             ;   in Loop: Header=BB6_1223 Depth=3
	s_sleep 1
	s_trap 2
	ds_read_b64 v[9:10], v0
	s_waitcnt lgkmcnt(0)
	buffer_gl0_inv
	s_andn2_b32 s24, s24, exec_lo
	v_cmp_ge_u64_e32 vcc_lo, v[9:10], v[70:71]
	s_orn2_b32 s41, vcc_lo, exec_lo
	s_branch .LBB6_1222
.LBB6_1227:                             ;   in Loop: Header=BB6_1193 Depth=2
	s_inst_prefetch 0x2
	s_or_b32 exec_lo, exec_lo, s22
	s_and_saveexec_b32 s22, s23
	s_xor_b32 s22, exec_lo, s22
	s_cbranch_execz .LBB6_1229
; %bb.1228:                             ;   in Loop: Header=BB6_1193 Depth=2
	ds_write_b32 v0, v92
	s_trap 2
.LBB6_1229:                             ;   in Loop: Header=BB6_1193 Depth=2
	s_or_b32 exec_lo, exec_lo, s21
	;;#ASMSTART
	s_wakeup
	;;#ASMEND
.LBB6_1230:                             ;   in Loop: Header=BB6_1193 Depth=2
	s_or_b32 exec_lo, exec_lo, s20
.LBB6_1231:                             ;   in Loop: Header=BB6_1193 Depth=2
	s_andn2_saveexec_b32 s19, s19
	s_cbranch_execz .LBB6_1233
; %bb.1232:                             ;   in Loop: Header=BB6_1193 Depth=2
	s_waitcnt vmcnt(0) lgkmcnt(0)
	s_waitcnt_vscnt null, 0x0
	buffer_gl1_inv
	buffer_gl0_inv
	s_barrier
.LBB6_1233:                             ;   in Loop: Header=BB6_1193 Depth=2
	s_or_b32 exec_lo, exec_lo, s19
.LBB6_1234:                             ;   in Loop: Header=BB6_1193 Depth=2
	s_or_b32 exec_lo, exec_lo, s16
	v_sub_nc_u32_e32 v2, v20, v8
	v_min_i32_e32 v21, v21, v2
	s_and_saveexec_b32 s16, s15
	s_xor_b32 s19, exec_lo, s16
	s_cbranch_execz .LBB6_1238
; %bb.1235:                             ;   in Loop: Header=BB6_1193 Depth=2
	s_trap 2
	ds_read_b32 v2, v0
	v_cmp_lt_i32_e32 vcc_lo, 0, v21
	s_waitcnt lgkmcnt(0)
	v_readfirstlane_b32 s16, v2
	v_and_b32_e32 v2, 16, v78
	s_cmp_eq_u32 s16, 0
	v_cmp_ne_u32_e64 s16, 0, v2
	s_cselect_b32 s20, -1, 0
	s_and_b32 s20, vcc_lo, s20
	s_and_b32 s20, s16, s20
	s_and_saveexec_b32 s16, s20
	s_cbranch_execz .LBB6_1237
; %bb.1236:                             ;   in Loop: Header=BB6_1193 Depth=2
	s_waitcnt vmcnt(0)
	s_waitcnt_vscnt null, 0x0
	buffer_gl1_inv
	buffer_gl0_inv
.LBB6_1237:                             ;   in Loop: Header=BB6_1193 Depth=2
	s_or_b32 exec_lo, exec_lo, s16
.LBB6_1238:                             ;   in Loop: Header=BB6_1193 Depth=2
	s_andn2_saveexec_b32 s16, s19
	s_cbranch_execz .LBB6_1257
; %bb.1239:                             ;   in Loop: Header=BB6_1193 Depth=2
	s_and_saveexec_b32 s19, s46
	s_xor_b32 s19, exec_lo, s19
	s_cbranch_execz .LBB6_1254
; %bb.1240:                             ;   in Loop: Header=BB6_1193 Depth=2
	s_and_saveexec_b32 s20, s11
	s_cbranch_execz .LBB6_1253
; %bb.1241:                             ;   in Loop: Header=BB6_1193 Depth=2
	s_mov_b32 s22, exec_lo
	s_mov_b32 s21, exec_lo
	v_mbcnt_lo_u32_b32 v2, s22, 0
	;;#ASMSTART
	s_waitcnt lgkmcnt(0) vmcnt(0)
	;;#ASMEND
	v_cmpx_eq_u32_e32 0, v2
	s_cbranch_execz .LBB6_1243
; %bb.1242:                             ;   in Loop: Header=BB6_1193 Depth=2
	s_bcnt1_i32_b32 s22, s22
	v_mov_b32_e32 v2, s22
	s_waitcnt vmcnt(0) lgkmcnt(0)
	s_waitcnt_vscnt null, 0x0
	ds_add_u64 v0, v[2:3]
	s_trap 2
.LBB6_1243:                             ;   in Loop: Header=BB6_1193 Depth=2
	s_or_b32 exec_lo, exec_lo, s21
	s_trap 2
	ds_read_b64 v[9:10], v0
	s_waitcnt vmcnt(0) lgkmcnt(0)
	buffer_gl0_inv
	v_add_co_u32 v70, vcc_lo, v70, v89
	v_add_co_ci_u32_e64 v71, null, 0, v71, vcc_lo
	s_mov_b32 s21, exec_lo
	v_cmpx_lt_u64_e64 v[9:10], v[70:71]
	s_cbranch_execz .LBB6_1252
; %bb.1244:                             ;   in Loop: Header=BB6_1193 Depth=2
	s_mov_b32 s22, 0
	s_mov_b32 s25, 0
                                        ; implicit-def: $sgpr23
                                        ; implicit-def: $sgpr24
	s_inst_prefetch 0x1
	s_branch .LBB6_1246
	.p2align	6
.LBB6_1245:                             ;   in Loop: Header=BB6_1246 Depth=3
	s_or_b32 exec_lo, exec_lo, s28
	s_and_b32 s26, exec_lo, s41
	s_or_b32 s22, s26, s22
	s_andn2_b32 s23, s23, exec_lo
	s_and_b32 s26, s24, exec_lo
	s_or_b32 s23, s23, s26
	s_andn2_b32 exec_lo, exec_lo, s22
	s_cbranch_execz .LBB6_1250
.LBB6_1246:                             ;   Parent Loop BB6_47 Depth=1
                                        ;     Parent Loop BB6_1193 Depth=2
                                        ; =>    This Inner Loop Header: Depth=3
	s_add_i32 s25, s25, 1
	s_cmpk_lg_i32 s25, 0x2710
	s_cselect_b32 s26, -1, 0
	s_and_b32 vcc_lo, exec_lo, s26
	s_cbranch_vccz .LBB6_1248
; %bb.1247:                             ;   in Loop: Header=BB6_1246 Depth=3
	s_mov_b32 s41, -1
	s_or_b32 s24, s24, exec_lo
	s_and_saveexec_b32 s28, s26
	s_cbranch_execz .LBB6_1245
	s_branch .LBB6_1249
	.p2align	6
.LBB6_1248:                             ;   in Loop: Header=BB6_1246 Depth=3
	s_trap 2
	ds_read_b64 v[9:10], v0
	s_andn2_b32 s26, s26, exec_lo
	s_mov_b32 s25, 0
	s_waitcnt lgkmcnt(0)
	s_waitcnt_vscnt null, 0x0
	flat_load_dword v2, v[9:10] glc dlc
	s_waitcnt vmcnt(0) lgkmcnt(0)
	buffer_gl1_inv
	buffer_gl0_inv
	v_cmp_eq_u32_e32 vcc_lo, 0, v2
	s_and_b32 s28, vcc_lo, exec_lo
	s_or_b32 s26, s26, s28
	s_mov_b32 s41, -1
	s_or_b32 s24, s24, exec_lo
	s_and_saveexec_b32 s28, s26
	s_cbranch_execz .LBB6_1245
.LBB6_1249:                             ;   in Loop: Header=BB6_1246 Depth=3
	s_sleep 1
	s_trap 2
	ds_read_b64 v[9:10], v0
	s_waitcnt lgkmcnt(0)
	buffer_gl0_inv
	s_andn2_b32 s24, s24, exec_lo
	v_cmp_ge_u64_e32 vcc_lo, v[9:10], v[70:71]
	s_orn2_b32 s41, vcc_lo, exec_lo
	s_branch .LBB6_1245
.LBB6_1250:                             ;   in Loop: Header=BB6_1193 Depth=2
	s_inst_prefetch 0x2
	s_or_b32 exec_lo, exec_lo, s22
	s_and_saveexec_b32 s22, s23
	s_xor_b32 s22, exec_lo, s22
	s_cbranch_execz .LBB6_1252
; %bb.1251:                             ;   in Loop: Header=BB6_1193 Depth=2
	ds_write_b32 v0, v92
	s_trap 2
.LBB6_1252:                             ;   in Loop: Header=BB6_1193 Depth=2
	s_or_b32 exec_lo, exec_lo, s21
	;;#ASMSTART
	s_wakeup
	;;#ASMEND
.LBB6_1253:                             ;   in Loop: Header=BB6_1193 Depth=2
	s_or_b32 exec_lo, exec_lo, s20
.LBB6_1254:                             ;   in Loop: Header=BB6_1193 Depth=2
	s_andn2_saveexec_b32 s19, s19
	s_cbranch_execz .LBB6_1256
; %bb.1255:                             ;   in Loop: Header=BB6_1193 Depth=2
	;;#ASMSTART
	s_waitcnt lgkmcnt(0) vmcnt(0)
	;;#ASMEND
	s_barrier
.LBB6_1256:                             ;   in Loop: Header=BB6_1193 Depth=2
	s_or_b32 exec_lo, exec_lo, s19
.LBB6_1257:                             ;   in Loop: Header=BB6_1193 Depth=2
	s_or_b32 exec_lo, exec_lo, s16
	v_and_b32_e32 v2, 32, v78
	s_mov_b32 s16, exec_lo
	v_cmpx_ne_u32_e32 0, v2
	s_cbranch_execz .LBB6_1192
; %bb.1258:                             ;   in Loop: Header=BB6_1193 Depth=2
	v_add_co_u32 v96, vcc_lo, v96, 2
	v_add_co_ci_u32_e64 v97, null, 0, v97, vcc_lo
	s_waitcnt vmcnt(0) lgkmcnt(0)
	s_waitcnt_vscnt null, 0x0
	flat_store_dwordx2 v[64:65], v[96:97]
	s_branch .LBB6_1192
.LBB6_1259:
	s_or_b32 exec_lo, exec_lo, s75
.LBB6_1260:
	s_or_b32 exec_lo, exec_lo, s44
	v_and_b32_e32 v0, 0x800, v78
	s_mov_b32 s5, exec_lo
	v_cmpx_eq_u32_e32 0, v0
	s_cbranch_execz .LBB6_1293
; %bb.1261:
	v_and_b32_e32 v0, 48, v78
	s_mov_b32 s4, exec_lo
	v_cmpx_ne_u32_e32 0, v0
	s_cbranch_execz .LBB6_1263
; %bb.1262:
	flat_store_dwordx2 v[54:55], v[96:97] offset:104
.LBB6_1263:
	s_or_b32 exec_lo, exec_lo, s4
	v_and_b32_e32 v0, 0x88, v78
	s_mov_b32 s6, exec_lo
	v_cmpx_eq_u32_e32 0x88, v0
	s_cbranch_execz .LBB6_1273
; %bb.1264:
	v_add_nc_u32_e32 v0, 6, v96
	s_mov_b32 s7, 0
	v_and_b32_e32 v0, 7, v0
	v_mad_u64_u32 v[2:3], null, v0, 24, v[6:7]
	v_and_b32_e32 v0, 64, v78
	v_cmp_eq_u32_e64 s4, 0, v0
	flat_load_dwordx2 v[4:5], v[2:3] offset:8 glc dlc
	s_waitcnt vmcnt(0) lgkmcnt(0)
	v_cmp_ne_u64_e32 vcc_lo, -1, v[4:5]
	s_and_b32 s4, vcc_lo, s4
	s_and_b32 exec_lo, exec_lo, s4
	s_cbranch_execz .LBB6_1273
; %bb.1265:
	s_mov_b32 s11, 0
                                        ; implicit-def: $sgpr4
                                        ; implicit-def: $sgpr10
	s_inst_prefetch 0x1
	s_branch .LBB6_1268
	.p2align	6
.LBB6_1266:                             ;   in Loop: Header=BB6_1268 Depth=1
	flat_load_dwordx2 v[4:5], v[2:3] offset:8 glc dlc
	s_waitcnt vmcnt(0)
	s_andn2_b32 s10, s10, exec_lo
	s_waitcnt lgkmcnt(0)
	v_cmp_eq_u64_e32 vcc_lo, -1, v[4:5]
	s_orn2_b32 s13, vcc_lo, exec_lo
.LBB6_1267:                             ;   in Loop: Header=BB6_1268 Depth=1
	s_or_b32 exec_lo, exec_lo, s14
	s_and_b32 s12, exec_lo, s13
	s_or_b32 s7, s12, s7
	s_andn2_b32 s4, s4, exec_lo
	s_and_b32 s12, s10, exec_lo
	s_or_b32 s4, s4, s12
	s_andn2_b32 exec_lo, exec_lo, s7
	s_cbranch_execz .LBB6_1271
.LBB6_1268:                             ; =>This Inner Loop Header: Depth=1
	s_cmpk_lt_i32 s11, 0x270f
	s_cselect_b32 s12, -1, 0
	s_and_b32 vcc_lo, exec_lo, s12
	s_cbranch_vccnz .LBB6_1270
; %bb.1269:                             ;   in Loop: Header=BB6_1268 Depth=1
	s_trap 2
	ds_read_b64 v[4:5], v0
	s_andn2_b32 s12, s12, exec_lo
	s_mov_b32 s11, 0
	s_waitcnt lgkmcnt(0)
	s_waitcnt_vscnt null, 0x0
	flat_load_dword v0, v[4:5] glc dlc
	s_waitcnt vmcnt(0) lgkmcnt(0)
	buffer_gl1_inv
	buffer_gl0_inv
	v_cmp_eq_u32_e32 vcc_lo, 0, v0
	s_and_b32 s13, vcc_lo, exec_lo
	s_or_b32 s12, s12, s13
	s_mov_b32 s13, -1
	s_or_b32 s10, s10, exec_lo
	s_and_saveexec_b32 s14, s12
	s_cbranch_execz .LBB6_1267
	s_branch .LBB6_1266
	.p2align	6
.LBB6_1270:                             ;   in Loop: Header=BB6_1268 Depth=1
	s_add_i32 s11, s11, 1
                                        ; implicit-def: $vgpr0
	s_mov_b32 s13, -1
	s_or_b32 s10, s10, exec_lo
	s_and_saveexec_b32 s14, s12
	s_cbranch_execz .LBB6_1267
	s_branch .LBB6_1266
.LBB6_1271:
	s_inst_prefetch 0x2
	s_or_b32 exec_lo, exec_lo, s7
	s_and_saveexec_b32 s7, s4
	s_xor_b32 s7, exec_lo, s7
	s_cbranch_execz .LBB6_1273
; %bb.1272:
	s_waitcnt_vscnt null, 0x0
	ds_write_b32 v0, v0
	s_trap 2
.LBB6_1273:
	s_or_b32 exec_lo, exec_lo, s6
	v_and_b32_e32 v0, 0x2000, v78
	s_mov_b32 s4, exec_lo
	v_cmpx_ne_u32_e32 0, v0
	s_cbranch_execz .LBB6_1275
; %bb.1274:
	s_trap 2
	ds_read_b64 v[2:3], v0
	s_clause 0x1
	buffer_load_dword v4, off, s[0:3], s33 offset:188
	buffer_load_dword v5, off, s[0:3], s33 offset:192
	s_waitcnt vmcnt(0) lgkmcnt(0)
	flat_store_dwordx2 v[4:5], v[2:3] offset:16
.LBB6_1275:
	s_or_b32 exec_lo, exec_lo, s4
	v_cmp_ne_u32_e32 vcc_lo, 32, v1
	s_and_b32 exec_lo, exec_lo, vcc_lo
	s_cbranch_execz .LBB6_1293
; %bb.1276:
	s_waitcnt vmcnt(0)
	v_cmp_ne_u32_sdwa s4, v1, v30 src0_sel:DWORD src1_sel:WORD_0
	s_and_saveexec_b32 s6, s4
	s_xor_b32 s4, exec_lo, s6
	s_cbranch_execz .LBB6_1291
; %bb.1277:
	v_and_b32_e32 v0, 31, v31
	s_mov_b32 s6, exec_lo
	v_cmpx_eq_u32_e32 0, v0
	s_cbranch_execz .LBB6_1290
; %bb.1278:
	s_mov_b32 s10, exec_lo
	s_mov_b32 s7, exec_lo
	v_mbcnt_lo_u32_b32 v0, s10, 0
	s_waitcnt lgkmcnt(0)
	s_waitcnt_vscnt null, 0x0
	buffer_gl1_inv
	buffer_gl0_inv
	v_cmpx_eq_u32_e32 0, v0
	s_cbranch_execz .LBB6_1280
; %bb.1279:
	s_bcnt1_i32_b32 s10, s10
	v_mov_b32_e32 v3, 0
	v_mov_b32_e32 v2, s10
	ds_add_u64 v0, v[2:3]
	s_trap 2
.LBB6_1280:
	s_or_b32 exec_lo, exec_lo, s7
	s_trap 2
	ds_read_b64 v[2:3], v0
	s_waitcnt lgkmcnt(0)
	buffer_gl0_inv
	v_lshrrev_b32_e32 v0, 5, v1
	s_mov_b32 s7, exec_lo
	v_add_co_u32 v0, vcc_lo, v70, v0
	v_add_co_ci_u32_e64 v1, null, 0, v71, vcc_lo
	v_cmpx_lt_u64_e64 v[2:3], v[0:1]
	s_cbranch_execz .LBB6_1289
; %bb.1281:
	s_mov_b32 s10, 0
	s_mov_b32 s13, 0
                                        ; implicit-def: $sgpr11
                                        ; implicit-def: $sgpr12
	s_inst_prefetch 0x1
	s_branch .LBB6_1283
	.p2align	6
.LBB6_1282:                             ;   in Loop: Header=BB6_1283 Depth=1
	s_or_b32 exec_lo, exec_lo, s15
	s_and_b32 s14, exec_lo, s16
	s_or_b32 s10, s14, s10
	s_andn2_b32 s11, s11, exec_lo
	s_and_b32 s14, s12, exec_lo
	s_or_b32 s11, s11, s14
	s_andn2_b32 exec_lo, exec_lo, s10
	s_cbranch_execz .LBB6_1287
.LBB6_1283:                             ; =>This Inner Loop Header: Depth=1
	s_add_i32 s13, s13, 1
	s_cmpk_lg_i32 s13, 0x2710
	s_cselect_b32 s14, -1, 0
	s_and_b32 vcc_lo, exec_lo, s14
	s_cbranch_vccz .LBB6_1285
; %bb.1284:                             ;   in Loop: Header=BB6_1283 Depth=1
	s_mov_b32 s16, -1
	s_or_b32 s12, s12, exec_lo
	s_and_saveexec_b32 s15, s14
	s_cbranch_execz .LBB6_1282
	s_branch .LBB6_1286
.LBB6_1285:                             ;   in Loop: Header=BB6_1283 Depth=1
	s_trap 2
	ds_read_b64 v[2:3], v0
	s_andn2_b32 s14, s14, exec_lo
	s_mov_b32 s13, 0
	s_waitcnt lgkmcnt(0)
	flat_load_dword v2, v[2:3] glc dlc
	s_waitcnt vmcnt(0) lgkmcnt(0)
	buffer_gl1_inv
	buffer_gl0_inv
	v_cmp_eq_u32_e32 vcc_lo, 0, v2
	s_and_b32 s15, vcc_lo, exec_lo
	s_or_b32 s14, s14, s15
	s_mov_b32 s16, -1
	s_or_b32 s12, s12, exec_lo
	s_and_saveexec_b32 s15, s14
	s_cbranch_execz .LBB6_1282
.LBB6_1286:                             ;   in Loop: Header=BB6_1283 Depth=1
	s_sleep 1
	s_trap 2
	ds_read_b64 v[2:3], v0
	s_waitcnt lgkmcnt(0)
	buffer_gl0_inv
	s_andn2_b32 s12, s12, exec_lo
	v_cmp_ge_u64_e32 vcc_lo, v[2:3], v[0:1]
	s_orn2_b32 s16, vcc_lo, exec_lo
	s_branch .LBB6_1282
.LBB6_1287:
	s_inst_prefetch 0x2
	s_or_b32 exec_lo, exec_lo, s10
	s_and_saveexec_b32 s10, s11
	s_xor_b32 s10, exec_lo, s10
	s_cbranch_execz .LBB6_1289
; %bb.1288:
	v_mov_b32_e32 v0, 1
	ds_write_b32 v0, v0
	s_trap 2
.LBB6_1289:
	s_or_b32 exec_lo, exec_lo, s7
	;;#ASMSTART
	s_wakeup
	;;#ASMEND
.LBB6_1290:
	s_or_b32 exec_lo, exec_lo, s6
.LBB6_1291:
	s_andn2_saveexec_b32 s4, s4
	s_cbranch_execz .LBB6_1293
; %bb.1292:
	s_waitcnt lgkmcnt(0)
	s_waitcnt_vscnt null, 0x0
	buffer_gl1_inv
	buffer_gl0_inv
	s_barrier
.LBB6_1293:
	s_or_b32 exec_lo, exec_lo, s5
.LBB6_1294:
	s_andn2_saveexec_b32 s25, s42
	s_cbranch_execz .LBB6_1296
; %bb.1295:
	s_getpc_b64 s[4:5]
	s_add_u32 s4, s4, __PRETTY_FUNCTION__._ZN10PrimitivesIm14FuncSumPostDivImE12FanSymmetricILi1EELi0E11ProtoSimpleILi2ELi2ELi0ELi4ELi0ELi0EELi0ELb0ELi0ELi0ELi0EEC2EiiPKiS8_PKvPvmhhhP15ncclDevWorkCollP14ncclDevWorkP2pii@rel32@lo+4
	s_addc_u32 s5, s5, __PRETTY_FUNCTION__._ZN10PrimitivesIm14FuncSumPostDivImE12FanSymmetricILi1EELi0E11ProtoSimpleILi2ELi2ELi0ELi4ELi0ELi0EELi0ELb0ELi0ELi0ELi0EEC2EiiPKiS8_PKvPvmhhhP15ncclDevWorkCollP14ncclDevWorkP2pii@rel32@hi+12
	v_mov_b32_e32 v0, s4
	v_mov_b32_e32 v1, s5
	s_getpc_b64 s[6:7]
	s_add_u32 s6, s6, __assert_fail@rel32@lo+4
	s_addc_u32 s7, s7, __assert_fail@rel32@hi+12
	s_swappc_b64 s[30:31], s[6:7]
	; divergent unreachable
.LBB6_1296:
	s_or_b32 exec_lo, exec_lo, s25
	s_clause 0x2e
	buffer_load_dword v126, off, s[0:3], s33
	buffer_load_dword v125, off, s[0:3], s33 offset:4
	buffer_load_dword v124, off, s[0:3], s33 offset:8
	;; [unrolled: 1-line block ×46, first 2 shown]
	v_readlane_b32 s30, v127, 0
	v_readlane_b32 s31, v127, 1
	s_mov_b32 s32, s33
	s_or_saveexec_b32 s4, -1
	buffer_load_dword v127, off, s[0:3], s33 offset:196 ; 4-byte Folded Reload
	s_mov_b32 exec_lo, s4
	s_mov_b32 s33, s92
	s_waitcnt vmcnt(0) lgkmcnt(0)
	s_setpc_b64 s[30:31]
.Lfunc_end6:
	.size	_ZN12_GLOBAL__N_17runRingIm14FuncSumPostDivImE11ProtoSimpleILi2ELi2ELi0ELi4ELi0ELi0EELi0ELi0ELi4ELi0EEEviiP15ncclDevWorkColl, .Lfunc_end6-_ZN12_GLOBAL__N_17runRingIm14FuncSumPostDivImE11ProtoSimpleILi2ELi2ELi0ELi4ELi0ELi0EELi0ELi0ELi4ELi0EEEviiP15ncclDevWorkColl
                                        ; -- End function
	.set .L_ZN12_GLOBAL__N_17runRingIm14FuncSumPostDivImE11ProtoSimpleILi2ELi2ELi0ELi4ELi0ELi0EELi0ELi0ELi4ELi0EEEviiP15ncclDevWorkColl.num_vgpr, max(128, .L__assert_fail.num_vgpr)
	.set .L_ZN12_GLOBAL__N_17runRingIm14FuncSumPostDivImE11ProtoSimpleILi2ELi2ELi0ELi4ELi0ELi0EELi0ELi0ELi4ELi0EEEviiP15ncclDevWorkColl.num_agpr, max(0, .L__assert_fail.num_agpr)
	.set .L_ZN12_GLOBAL__N_17runRingIm14FuncSumPostDivImE11ProtoSimpleILi2ELi2ELi0ELi4ELi0ELi0EELi0ELi0ELi4ELi0EEEviiP15ncclDevWorkColl.numbered_sgpr, max(93, .L__assert_fail.numbered_sgpr)
	.set .L_ZN12_GLOBAL__N_17runRingIm14FuncSumPostDivImE11ProtoSimpleILi2ELi2ELi0ELi4ELi0ELi0EELi0ELi0ELi4ELi0EEEviiP15ncclDevWorkColl.num_named_barrier, max(0, .L__assert_fail.num_named_barrier)
	.set .L_ZN12_GLOBAL__N_17runRingIm14FuncSumPostDivImE11ProtoSimpleILi2ELi2ELi0ELi4ELi0ELi0EELi0ELi0ELi4ELi0EEEviiP15ncclDevWorkColl.private_seg_size, 208+max(.L__assert_fail.private_seg_size)
	.set .L_ZN12_GLOBAL__N_17runRingIm14FuncSumPostDivImE11ProtoSimpleILi2ELi2ELi0ELi4ELi0ELi0EELi0ELi0ELi4ELi0EEEviiP15ncclDevWorkColl.uses_vcc, or(1, .L__assert_fail.uses_vcc)
	.set .L_ZN12_GLOBAL__N_17runRingIm14FuncSumPostDivImE11ProtoSimpleILi2ELi2ELi0ELi4ELi0ELi0EELi0ELi0ELi4ELi0EEEviiP15ncclDevWorkColl.uses_flat_scratch, or(1, .L__assert_fail.uses_flat_scratch)
	.set .L_ZN12_GLOBAL__N_17runRingIm14FuncSumPostDivImE11ProtoSimpleILi2ELi2ELi0ELi4ELi0ELi0EELi0ELi0ELi4ELi0EEEviiP15ncclDevWorkColl.has_dyn_sized_stack, or(0, .L__assert_fail.has_dyn_sized_stack)
	.set .L_ZN12_GLOBAL__N_17runRingIm14FuncSumPostDivImE11ProtoSimpleILi2ELi2ELi0ELi4ELi0ELi0EELi0ELi0ELi4ELi0EEEviiP15ncclDevWorkColl.has_recursion, or(1, .L__assert_fail.has_recursion)
	.set .L_ZN12_GLOBAL__N_17runRingIm14FuncSumPostDivImE11ProtoSimpleILi2ELi2ELi0ELi4ELi0ELi0EELi0ELi0ELi4ELi0EEEviiP15ncclDevWorkColl.has_indirect_call, or(0, .L__assert_fail.has_indirect_call)
	.section	.AMDGPU.csdata,"",@progbits
; Function info:
; codeLenInByte = 75352
; TotalNumSgprs: 95
; NumVgprs: 128
; ScratchSize: 272
; MemoryBound: 1
	.text
	.p2align	2                               ; -- Begin function _Z54ncclDevFunc_AllReduce_RING_SIMPLE_SumPostDiv_u64_0_0_4v
	.type	_Z54ncclDevFunc_AllReduce_RING_SIMPLE_SumPostDiv_u64_0_0_4v,@function
_Z54ncclDevFunc_AllReduce_RING_SIMPLE_SumPostDiv_u64_0_0_4v: ; @_Z54ncclDevFunc_AllReduce_RING_SIMPLE_SumPostDiv_u64_0_0_4v
; %bb.0:
	s_waitcnt vmcnt(0) expcnt(0) lgkmcnt(0)
	s_mov_b32 s4, s33
	s_mov_b32 s33, s32
	s_or_saveexec_b32 s5, -1
	buffer_store_dword v43, off, s[0:3], s33 offset:16 ; 4-byte Folded Spill
	s_mov_b32 exec_lo, s5
	v_writelane_b32 v43, s4, 3
	s_addk_i32 s32, 0x400
	buffer_store_dword v40, off, s[0:3], s33 offset:12 ; 4-byte Folded Spill
	buffer_store_dword v41, off, s[0:3], s33 offset:8 ; 4-byte Folded Spill
	;; [unrolled: 1-line block ×3, first 2 shown]
	buffer_store_dword v127, off, s[0:3], s33 ; 4-byte Folded Spill
	v_writelane_b32 v43, s34, 0
	v_writelane_b32 v43, s30, 1
	v_writelane_b32 v43, s31, 2
	s_trap 2
	ds_read_b32 v0, v0
	v_mov_b32_e32 v40, v31
	s_mov_b32 s93, s12
	s_mov_b64 s[94:95], s[8:9]
	s_mov_b32 s4, exec_lo
	v_and_b32_e32 v41, 0x3ff, v40
	s_waitcnt lgkmcnt(0)
	v_cmpx_lt_i32_e64 v41, v0
	s_cbranch_execz .LBB7_5
; %bb.1:
	s_load_dword s5, s[94:95], 0x0
	v_mov_b32_e32 v1, 0
	v_mov_b32_e32 v3, v41
                                        ; implicit-def: $vgpr4
	s_waitcnt lgkmcnt(0)
	s_cmp_lt_u32 s93, s5
	s_cselect_b32 s5, 12, 18
	s_add_u32 s6, s94, s5
	s_addc_u32 s7, s95, 0
	s_mov_b32 s5, 0
	global_load_ushort v1, v1, s[6:7]
	s_trap 2
	ds_read_b32 v2, v0
	s_waitcnt vmcnt(0) lgkmcnt(0)
	v_mul_lo_u32 v2, v2, v1
	s_branch .LBB7_3
	.p2align	6
.LBB7_2:                                ;   in Loop: Header=BB7_3 Depth=1
	s_or_b32 exec_lo, exec_lo, s6
	v_add_nc_u32_e32 v3, v3, v1
	v_add_nc_u32_e32 v4, v4, v2
	v_cmp_ge_i32_e32 vcc_lo, v3, v0
	s_or_b32 s5, vcc_lo, s5
	s_andn2_b32 exec_lo, exec_lo, s5
	s_cbranch_execz .LBB7_5
.LBB7_3:                                ; =>This Inner Loop Header: Depth=1
	ds_read_b32 v5, v4
	s_mov_b32 s6, exec_lo
	s_waitcnt lgkmcnt(0)
	v_and_b32_e32 v5, 0x1000000, v5
	v_cmpx_ne_u32_e32 0, v5
	s_cbranch_execz .LBB7_2
; %bb.4:                                ;   in Loop: Header=BB7_3 Depth=1
	ds_read_b64 v[5:6], v4 offset:104
	s_waitcnt lgkmcnt(0)
	flat_load_dwordx2 v[5:6], v[5:6]
	s_waitcnt vmcnt(0) lgkmcnt(0)
	ds_write_b64 v4, v[5:6] offset:104
	s_branch .LBB7_2
.LBB7_5:
	s_or_b32 exec_lo, exec_lo, s4
	s_waitcnt lgkmcnt(0)
	s_waitcnt_vscnt null, 0x0
	s_barrier
	buffer_gl0_inv
	s_trap 2
	ds_read_b32 v0, v0
	s_waitcnt lgkmcnt(0)
	v_cmp_gt_i32_e32 vcc_lo, 1, v0
	s_cbranch_vccnz .LBB7_13
; %bb.6:
	v_mov_b32_e32 v42, 5
	s_mov_b32 vcc_hi, 0
	s_inst_prefetch 0x1
	s_branch .LBB7_8
	.p2align	6
.LBB7_7:                                ;   in Loop: Header=BB7_8 Depth=1
	s_or_b32 exec_lo, exec_lo, s34
	s_trap 2
	ds_read_b32 v0, v0
	s_add_i32 vcc_hi, vcc_hi, 1
	s_waitcnt lgkmcnt(0)
	v_cmp_lt_i32_e32 vcc_lo, vcc_hi, v0
	s_cbranch_vccz .LBB7_13
.LBB7_8:                                ; =>This Inner Loop Header: Depth=1
	s_trap 2
	ds_read_b32 v0, v0
	s_cmp_eq_u32 vcc_hi, 0
	s_cbranch_scc1 .LBB7_11
; %bb.9:                                ;   in Loop: Header=BB7_8 Depth=1
	s_trap 2
	s_waitcnt lgkmcnt(0)
	ds_read_b32 v1, v0
	s_waitcnt lgkmcnt(0)
	v_xor_b32_e32 v1, v1, v0
	v_and_b32_e32 v1, 0xff0000, v1
	v_cmp_eq_u32_e32 vcc_lo, 0, v1
	s_cbranch_vccnz .LBB7_11
; %bb.10:                               ;   in Loop: Header=BB7_8 Depth=1
	s_barrier
	buffer_gl0_inv
	ds_read_b32 v0, v0
.LBB7_11:                               ;   in Loop: Header=BB7_8 Depth=1
	s_waitcnt lgkmcnt(0)
	v_lshlrev_b32_sdwa v1, v42, v0 dst_sel:DWORD dst_unused:UNUSED_PAD src0_sel:DWORD src1_sel:BYTE_2
	s_mov_b32 s34, exec_lo
	v_cmpx_lt_u32_e64 v41, v1
	s_cbranch_execz .LBB7_7
; %bb.12:                               ;   in Loop: Header=BB7_8 Depth=1
	s_mov_b64 s[4:5], src_shared_base
	v_mov_b32_e32 v31, v40
	v_mov_b32_e32 v0, v41
	;; [unrolled: 1-line block ×3, first 2 shown]
	s_getpc_b64 s[6:7]
	s_add_u32 s6, s6, _ZN12_GLOBAL__N_17runRingIm14FuncSumPostDivImE11ProtoSimpleILi2ELi2ELi0ELi4ELi0ELi0EELi0ELi0ELi4ELi0EEEviiP15ncclDevWorkColl@rel32@lo+4
	s_addc_u32 s7, s7, _ZN12_GLOBAL__N_17runRingIm14FuncSumPostDivImE11ProtoSimpleILi2ELi2ELi0ELi4ELi0ELi0EELi0ELi0ELi4ELi0EEEviiP15ncclDevWorkColl@rel32@hi+12
	s_mov_b64 s[8:9], s[94:95]
	s_mov_b32 s12, s93
	s_swappc_b64 s[30:31], s[6:7]
	s_branch .LBB7_7
.LBB7_13:
	s_inst_prefetch 0x2
	s_clause 0x3
	buffer_load_dword v127, off, s[0:3], s33
	buffer_load_dword v42, off, s[0:3], s33 offset:4
	buffer_load_dword v41, off, s[0:3], s33 offset:8
	;; [unrolled: 1-line block ×3, first 2 shown]
	v_readlane_b32 s30, v43, 1
	v_readlane_b32 s31, v43, 2
	;; [unrolled: 1-line block ×3, first 2 shown]
	s_mov_b32 s32, s33
	v_readlane_b32 s4, v43, 3
	s_or_saveexec_b32 s5, -1
	buffer_load_dword v43, off, s[0:3], s33 offset:16 ; 4-byte Folded Reload
	s_mov_b32 exec_lo, s5
	s_mov_b32 s33, s4
	s_waitcnt vmcnt(0)
	s_setpc_b64 s[30:31]
.Lfunc_end7:
	.size	_Z54ncclDevFunc_AllReduce_RING_SIMPLE_SumPostDiv_u64_0_0_4v, .Lfunc_end7-_Z54ncclDevFunc_AllReduce_RING_SIMPLE_SumPostDiv_u64_0_0_4v
                                        ; -- End function
	.set .L_Z54ncclDevFunc_AllReduce_RING_SIMPLE_SumPostDiv_u64_0_0_4v.num_vgpr, max(128, .L_ZN12_GLOBAL__N_17runRingIm14FuncSumPostDivImE11ProtoSimpleILi2ELi2ELi0ELi4ELi0ELi0EELi0ELi0ELi4ELi0EEEviiP15ncclDevWorkColl.num_vgpr)
	.set .L_Z54ncclDevFunc_AllReduce_RING_SIMPLE_SumPostDiv_u64_0_0_4v.num_agpr, max(0, .L_ZN12_GLOBAL__N_17runRingIm14FuncSumPostDivImE11ProtoSimpleILi2ELi2ELi0ELi4ELi0ELi0EELi0ELi0ELi4ELi0EEEviiP15ncclDevWorkColl.num_agpr)
	.set .L_Z54ncclDevFunc_AllReduce_RING_SIMPLE_SumPostDiv_u64_0_0_4v.numbered_sgpr, max(96, .L_ZN12_GLOBAL__N_17runRingIm14FuncSumPostDivImE11ProtoSimpleILi2ELi2ELi0ELi4ELi0ELi0EELi0ELi0ELi4ELi0EEEviiP15ncclDevWorkColl.numbered_sgpr)
	.set .L_Z54ncclDevFunc_AllReduce_RING_SIMPLE_SumPostDiv_u64_0_0_4v.num_named_barrier, max(0, .L_ZN12_GLOBAL__N_17runRingIm14FuncSumPostDivImE11ProtoSimpleILi2ELi2ELi0ELi4ELi0ELi0EELi0ELi0ELi4ELi0EEEviiP15ncclDevWorkColl.num_named_barrier)
	.set .L_Z54ncclDevFunc_AllReduce_RING_SIMPLE_SumPostDiv_u64_0_0_4v.private_seg_size, 32+max(.L_ZN12_GLOBAL__N_17runRingIm14FuncSumPostDivImE11ProtoSimpleILi2ELi2ELi0ELi4ELi0ELi0EELi0ELi0ELi4ELi0EEEviiP15ncclDevWorkColl.private_seg_size)
	.set .L_Z54ncclDevFunc_AllReduce_RING_SIMPLE_SumPostDiv_u64_0_0_4v.uses_vcc, or(1, .L_ZN12_GLOBAL__N_17runRingIm14FuncSumPostDivImE11ProtoSimpleILi2ELi2ELi0ELi4ELi0ELi0EELi0ELi0ELi4ELi0EEEviiP15ncclDevWorkColl.uses_vcc)
	.set .L_Z54ncclDevFunc_AllReduce_RING_SIMPLE_SumPostDiv_u64_0_0_4v.uses_flat_scratch, or(0, .L_ZN12_GLOBAL__N_17runRingIm14FuncSumPostDivImE11ProtoSimpleILi2ELi2ELi0ELi4ELi0ELi0EELi0ELi0ELi4ELi0EEEviiP15ncclDevWorkColl.uses_flat_scratch)
	.set .L_Z54ncclDevFunc_AllReduce_RING_SIMPLE_SumPostDiv_u64_0_0_4v.has_dyn_sized_stack, or(0, .L_ZN12_GLOBAL__N_17runRingIm14FuncSumPostDivImE11ProtoSimpleILi2ELi2ELi0ELi4ELi0ELi0EELi0ELi0ELi4ELi0EEEviiP15ncclDevWorkColl.has_dyn_sized_stack)
	.set .L_Z54ncclDevFunc_AllReduce_RING_SIMPLE_SumPostDiv_u64_0_0_4v.has_recursion, or(1, .L_ZN12_GLOBAL__N_17runRingIm14FuncSumPostDivImE11ProtoSimpleILi2ELi2ELi0ELi4ELi0ELi0EELi0ELi0ELi4ELi0EEEviiP15ncclDevWorkColl.has_recursion)
	.set .L_Z54ncclDevFunc_AllReduce_RING_SIMPLE_SumPostDiv_u64_0_0_4v.has_indirect_call, or(0, .L_ZN12_GLOBAL__N_17runRingIm14FuncSumPostDivImE11ProtoSimpleILi2ELi2ELi0ELi4ELi0ELi0EELi0ELi0ELi4ELi0EEEviiP15ncclDevWorkColl.has_indirect_call)
	.section	.AMDGPU.csdata,"",@progbits
; Function info:
; codeLenInByte = 744
; TotalNumSgprs: 98
; NumVgprs: 128
; ScratchSize: 304
; MemoryBound: 0
	.text
	.p2alignl 6, 3214868480
	.fill 48, 4, 3214868480
	.section	.AMDGPU.gpr_maximums,"",@progbits
	.set amdgpu.max_num_vgpr, 128
	.set amdgpu.max_num_agpr, 0
	.set amdgpu.max_num_sgpr, 96
	.text
	.type	__const.__assert_fail.fmt,@object ; @__const.__assert_fail.fmt
	.section	.rodata.str1.16,"aMS",@progbits,1
	.p2align	4, 0x0
__const.__assert_fail.fmt:
	.asciz	"%s:%u: %s: Device-side assertion `%s' failed.\n"
	.size	__const.__assert_fail.fmt, 47

	.type	.str.3,@object                  ; @.str.3
	.section	.rodata.str1.1,"aMS",@progbits,1
.str.3:
	.asciz	"2*(nrecv+nsend) <= nthreads"
	.size	.str.3, 28

	.type	.str.4,@object                  ; @.str.4
.str.4:
	.asciz	"/root/src/amdgpu-assembly/repos/ROCm__rccl/hipify/src/device/prims_simple.h"
	.size	.str.4, 76

	.type	__PRETTY_FUNCTION__._ZN10PrimitivesIm14FuncSumPostDivImE12FanSymmetricILi1EELi0E11ProtoSimpleILi2ELi2ELi0ELi1ELi0ELi0EELi0ELb0ELi0ELi0ELi0EEC2EiiPKiS8_PKvPvmhhhP15ncclDevWorkCollP14ncclDevWorkP2pii,@object ; @__PRETTY_FUNCTION__._ZN10PrimitivesIm14FuncSumPostDivImE12FanSymmetricILi1EELi0E11ProtoSimpleILi2ELi2ELi0ELi1ELi0ELi0EELi0ELb0ELi0ELi0ELi0EEC2EiiPKiS8_PKvPvmhhhP15ncclDevWorkCollP14ncclDevWorkP2pii
__PRETTY_FUNCTION__._ZN10PrimitivesIm14FuncSumPostDivImE12FanSymmetricILi1EELi0E11ProtoSimpleILi2ELi2ELi0ELi1ELi0ELi0EELi0ELb0ELi0ELi0ELi0EEC2EiiPKiS8_PKvPvmhhhP15ncclDevWorkCollP14ncclDevWorkP2pii:
	.asciz	"Primitives<unsigned long, FuncSumPostDiv<unsigned long>, FanSymmetric<1>, 0, ProtoSimple<2, 2, 0, 1>, 0>::Primitives(int, int, const int *, const int *, const void *, void *, uint64_t, uint8_t, uint8_t, uint8_t, struct ncclDevWorkColl *, struct ncclDevWorkP2p *, int, int) [T = unsigned long, RedOp = FuncSumPostDiv<unsigned long>, Fan = FanSymmetric<1>, Direct = 0, Proto = ProtoSimple<2, 2, 0, 1>, P2p = 0, isNetOffload = false, Metadata = 0, Pipeline = 0, useAcc = 0]"
	.size	__PRETTY_FUNCTION__._ZN10PrimitivesIm14FuncSumPostDivImE12FanSymmetricILi1EELi0E11ProtoSimpleILi2ELi2ELi0ELi1ELi0ELi0EELi0ELb0ELi0ELi0ELi0EEC2EiiPKiS8_PKvPvmhhhP15ncclDevWorkCollP14ncclDevWorkP2pii, 471

	.type	__PRETTY_FUNCTION__._ZN10PrimitivesIm14FuncSumPostDivImE12FanSymmetricILi1EELi0E11ProtoSimpleILi2ELi2ELi0ELi2ELi0ELi0EELi0ELb0ELi0ELi0ELi0EEC2EiiPKiS8_PKvPvmhhhP15ncclDevWorkCollP14ncclDevWorkP2pii,@object ; @__PRETTY_FUNCTION__._ZN10PrimitivesIm14FuncSumPostDivImE12FanSymmetricILi1EELi0E11ProtoSimpleILi2ELi2ELi0ELi2ELi0ELi0EELi0ELb0ELi0ELi0ELi0EEC2EiiPKiS8_PKvPvmhhhP15ncclDevWorkCollP14ncclDevWorkP2pii
__PRETTY_FUNCTION__._ZN10PrimitivesIm14FuncSumPostDivImE12FanSymmetricILi1EELi0E11ProtoSimpleILi2ELi2ELi0ELi2ELi0ELi0EELi0ELb0ELi0ELi0ELi0EEC2EiiPKiS8_PKvPvmhhhP15ncclDevWorkCollP14ncclDevWorkP2pii:
	.asciz	"Primitives<unsigned long, FuncSumPostDiv<unsigned long>, FanSymmetric<1>, 0, ProtoSimple<2, 2, 0, 2>, 0>::Primitives(int, int, const int *, const int *, const void *, void *, uint64_t, uint8_t, uint8_t, uint8_t, struct ncclDevWorkColl *, struct ncclDevWorkP2p *, int, int) [T = unsigned long, RedOp = FuncSumPostDiv<unsigned long>, Fan = FanSymmetric<1>, Direct = 0, Proto = ProtoSimple<2, 2, 0, 2>, P2p = 0, isNetOffload = false, Metadata = 0, Pipeline = 0, useAcc = 0]"
	.size	__PRETTY_FUNCTION__._ZN10PrimitivesIm14FuncSumPostDivImE12FanSymmetricILi1EELi0E11ProtoSimpleILi2ELi2ELi0ELi2ELi0ELi0EELi0ELb0ELi0ELi0ELi0EEC2EiiPKiS8_PKvPvmhhhP15ncclDevWorkCollP14ncclDevWorkP2pii, 471

	.type	__PRETTY_FUNCTION__._ZN10PrimitivesIm14FuncSumPostDivImE12FanSymmetricILi1EELi0E11ProtoSimpleILi2ELi2ELi0ELi4ELi0ELi0EELi0ELb0ELi0ELi0ELi0EEC2EiiPKiS8_PKvPvmhhhP15ncclDevWorkCollP14ncclDevWorkP2pii,@object ; @__PRETTY_FUNCTION__._ZN10PrimitivesIm14FuncSumPostDivImE12FanSymmetricILi1EELi0E11ProtoSimpleILi2ELi2ELi0ELi4ELi0ELi0EELi0ELb0ELi0ELi0ELi0EEC2EiiPKiS8_PKvPvmhhhP15ncclDevWorkCollP14ncclDevWorkP2pii
__PRETTY_FUNCTION__._ZN10PrimitivesIm14FuncSumPostDivImE12FanSymmetricILi1EELi0E11ProtoSimpleILi2ELi2ELi0ELi4ELi0ELi0EELi0ELb0ELi0ELi0ELi0EEC2EiiPKiS8_PKvPvmhhhP15ncclDevWorkCollP14ncclDevWorkP2pii:
	.asciz	"Primitives<unsigned long, FuncSumPostDiv<unsigned long>, FanSymmetric<1>, 0, ProtoSimple<2, 2, 0, 4>, 0>::Primitives(int, int, const int *, const int *, const void *, void *, uint64_t, uint8_t, uint8_t, uint8_t, struct ncclDevWorkColl *, struct ncclDevWorkP2p *, int, int) [T = unsigned long, RedOp = FuncSumPostDiv<unsigned long>, Fan = FanSymmetric<1>, Direct = 0, Proto = ProtoSimple<2, 2, 0, 4>, P2p = 0, isNetOffload = false, Metadata = 0, Pipeline = 0, useAcc = 0]"
	.size	__PRETTY_FUNCTION__._ZN10PrimitivesIm14FuncSumPostDivImE12FanSymmetricILi1EELi0E11ProtoSimpleILi2ELi2ELi0ELi4ELi0ELi0EELi0ELb0ELi0ELi0ELi0EEC2EiiPKiS8_PKvPvmhhhP15ncclDevWorkCollP14ncclDevWorkP2pii, 471

	.type	__hip_cuid_336db907cf988b70,@object ; @__hip_cuid_336db907cf988b70
	.section	.bss,"aw",@nobits
	.globl	__hip_cuid_336db907cf988b70
__hip_cuid_336db907cf988b70:
	.byte	0                               ; 0x0
	.size	__hip_cuid_336db907cf988b70, 1

	.ident	"AMD clang version 22.0.0git (https://github.com/RadeonOpenCompute/llvm-project roc-7.2.4 26084 f58b06dce1f9c15707c5f808fd002e18c2accf7e)"
	.section	".note.GNU-stack","",@progbits
	.addrsig
	.addrsig_sym _Z54ncclDevFunc_AllReduce_RING_SIMPLE_SumPostDiv_u64_0_0_1v
	.addrsig_sym _Z54ncclDevFunc_AllReduce_RING_SIMPLE_SumPostDiv_u64_0_0_2v
	.addrsig_sym _Z54ncclDevFunc_AllReduce_RING_SIMPLE_SumPostDiv_u64_0_0_4v
	.addrsig_sym ncclShmem
	.addrsig_sym __hip_cuid_336db907cf988b70
	.amdgpu_metadata
---
amdhsa.kernels:  []
amdhsa.target:   amdgcn-amd-amdhsa--gfx1030
amdhsa.version:
  - 1
  - 2
...

	.end_amdgpu_metadata
